;; amdgpu-corpus repo=ROCm/rocFFT kind=compiled arch=gfx906 opt=O3
	.text
	.amdgcn_target "amdgcn-amd-amdhsa--gfx906"
	.amdhsa_code_object_version 6
	.protected	fft_rtc_fwd_len867_factors_17_17_3_wgs_51_tpt_51_halfLds_half_op_CI_CI_unitstride_sbrr_dirReg ; -- Begin function fft_rtc_fwd_len867_factors_17_17_3_wgs_51_tpt_51_halfLds_half_op_CI_CI_unitstride_sbrr_dirReg
	.globl	fft_rtc_fwd_len867_factors_17_17_3_wgs_51_tpt_51_halfLds_half_op_CI_CI_unitstride_sbrr_dirReg
	.p2align	8
	.type	fft_rtc_fwd_len867_factors_17_17_3_wgs_51_tpt_51_halfLds_half_op_CI_CI_unitstride_sbrr_dirReg,@function
fft_rtc_fwd_len867_factors_17_17_3_wgs_51_tpt_51_halfLds_half_op_CI_CI_unitstride_sbrr_dirReg: ; @fft_rtc_fwd_len867_factors_17_17_3_wgs_51_tpt_51_halfLds_half_op_CI_CI_unitstride_sbrr_dirReg
; %bb.0:
	s_load_dwordx4 s[12:15], s[4:5], 0x58
	s_load_dwordx4 s[8:11], s[4:5], 0x0
	;; [unrolled: 1-line block ×3, first 2 shown]
	v_mul_u32_u24_e32 v1, 0x506, v0
	v_mov_b32_e32 v7, 0
	v_mov_b32_e32 v5, 0
	s_waitcnt lgkmcnt(0)
	v_cmp_lt_u64_e64 s[0:1], s[10:11], 2
	v_add_u32_sdwa v9, s6, v1 dst_sel:DWORD dst_unused:UNUSED_PAD src0_sel:DWORD src1_sel:WORD_1
	v_mov_b32_e32 v10, v7
	s_and_b64 vcc, exec, s[0:1]
	v_mov_b32_e32 v6, 0
	s_cbranch_vccnz .LBB0_8
; %bb.1:
	s_load_dwordx2 s[0:1], s[4:5], 0x10
	s_add_u32 s2, s18, 8
	s_addc_u32 s3, s19, 0
	s_add_u32 s6, s16, 8
	s_addc_u32 s7, s17, 0
	v_mov_b32_e32 v5, 0
	s_waitcnt lgkmcnt(0)
	s_add_u32 s20, s0, 8
	v_mov_b32_e32 v6, 0
	v_mov_b32_e32 v1, v5
	s_addc_u32 s21, s1, 0
	s_mov_b64 s[22:23], 1
	v_mov_b32_e32 v2, v6
.LBB0_2:                                ; =>This Inner Loop Header: Depth=1
	s_load_dwordx2 s[24:25], s[20:21], 0x0
                                        ; implicit-def: $vgpr3_vgpr4
	s_waitcnt lgkmcnt(0)
	v_or_b32_e32 v8, s25, v10
	v_cmp_ne_u64_e32 vcc, 0, v[7:8]
	s_and_saveexec_b64 s[0:1], vcc
	s_xor_b64 s[26:27], exec, s[0:1]
	s_cbranch_execz .LBB0_4
; %bb.3:                                ;   in Loop: Header=BB0_2 Depth=1
	v_cvt_f32_u32_e32 v3, s24
	v_cvt_f32_u32_e32 v4, s25
	s_sub_u32 s0, 0, s24
	s_subb_u32 s1, 0, s25
	v_mac_f32_e32 v3, 0x4f800000, v4
	v_rcp_f32_e32 v3, v3
	v_mul_f32_e32 v3, 0x5f7ffffc, v3
	v_mul_f32_e32 v4, 0x2f800000, v3
	v_trunc_f32_e32 v4, v4
	v_mac_f32_e32 v3, 0xcf800000, v4
	v_cvt_u32_f32_e32 v4, v4
	v_cvt_u32_f32_e32 v3, v3
	v_mul_lo_u32 v8, s0, v4
	v_mul_hi_u32 v11, s0, v3
	v_mul_lo_u32 v13, s1, v3
	v_mul_lo_u32 v12, s0, v3
	v_add_u32_e32 v8, v11, v8
	v_add_u32_e32 v8, v8, v13
	v_mul_hi_u32 v11, v3, v12
	v_mul_lo_u32 v13, v3, v8
	v_mul_hi_u32 v15, v3, v8
	v_mul_hi_u32 v14, v4, v12
	v_mul_lo_u32 v12, v4, v12
	v_mul_hi_u32 v16, v4, v8
	v_add_co_u32_e32 v11, vcc, v11, v13
	v_addc_co_u32_e32 v13, vcc, 0, v15, vcc
	v_mul_lo_u32 v8, v4, v8
	v_add_co_u32_e32 v11, vcc, v11, v12
	v_addc_co_u32_e32 v11, vcc, v13, v14, vcc
	v_addc_co_u32_e32 v12, vcc, 0, v16, vcc
	v_add_co_u32_e32 v8, vcc, v11, v8
	v_addc_co_u32_e32 v11, vcc, 0, v12, vcc
	v_add_co_u32_e32 v3, vcc, v3, v8
	v_addc_co_u32_e32 v4, vcc, v4, v11, vcc
	v_mul_lo_u32 v8, s0, v4
	v_mul_hi_u32 v11, s0, v3
	v_mul_lo_u32 v12, s1, v3
	v_mul_lo_u32 v13, s0, v3
	v_add_u32_e32 v8, v11, v8
	v_add_u32_e32 v8, v8, v12
	v_mul_lo_u32 v14, v3, v8
	v_mul_hi_u32 v15, v3, v13
	v_mul_hi_u32 v16, v3, v8
	v_mul_hi_u32 v12, v4, v13
	v_mul_lo_u32 v13, v4, v13
	v_mul_hi_u32 v11, v4, v8
	v_add_co_u32_e32 v14, vcc, v15, v14
	v_addc_co_u32_e32 v15, vcc, 0, v16, vcc
	v_mul_lo_u32 v8, v4, v8
	v_add_co_u32_e32 v13, vcc, v14, v13
	v_addc_co_u32_e32 v12, vcc, v15, v12, vcc
	v_addc_co_u32_e32 v11, vcc, 0, v11, vcc
	v_add_co_u32_e32 v8, vcc, v12, v8
	v_addc_co_u32_e32 v11, vcc, 0, v11, vcc
	v_add_co_u32_e32 v8, vcc, v3, v8
	v_addc_co_u32_e32 v11, vcc, v4, v11, vcc
	v_mad_u64_u32 v[3:4], s[0:1], v9, v11, 0
	v_mul_hi_u32 v12, v9, v8
	v_add_co_u32_e32 v13, vcc, v12, v3
	v_addc_co_u32_e32 v14, vcc, 0, v4, vcc
	v_mad_u64_u32 v[3:4], s[0:1], v10, v8, 0
	v_mad_u64_u32 v[11:12], s[0:1], v10, v11, 0
	v_add_co_u32_e32 v3, vcc, v13, v3
	v_addc_co_u32_e32 v3, vcc, v14, v4, vcc
	v_addc_co_u32_e32 v4, vcc, 0, v12, vcc
	v_add_co_u32_e32 v8, vcc, v3, v11
	v_addc_co_u32_e32 v11, vcc, 0, v4, vcc
	v_mul_lo_u32 v12, s25, v8
	v_mul_lo_u32 v13, s24, v11
	v_mad_u64_u32 v[3:4], s[0:1], s24, v8, 0
	v_add3_u32 v4, v4, v13, v12
	v_sub_u32_e32 v12, v10, v4
	v_mov_b32_e32 v13, s25
	v_sub_co_u32_e32 v3, vcc, v9, v3
	v_subb_co_u32_e64 v12, s[0:1], v12, v13, vcc
	v_subrev_co_u32_e64 v13, s[0:1], s24, v3
	v_subbrev_co_u32_e64 v12, s[0:1], 0, v12, s[0:1]
	v_cmp_le_u32_e64 s[0:1], s25, v12
	v_cndmask_b32_e64 v14, 0, -1, s[0:1]
	v_cmp_le_u32_e64 s[0:1], s24, v13
	v_cndmask_b32_e64 v13, 0, -1, s[0:1]
	v_cmp_eq_u32_e64 s[0:1], s25, v12
	v_cndmask_b32_e64 v12, v14, v13, s[0:1]
	v_add_co_u32_e64 v13, s[0:1], 2, v8
	v_addc_co_u32_e64 v14, s[0:1], 0, v11, s[0:1]
	v_add_co_u32_e64 v15, s[0:1], 1, v8
	v_addc_co_u32_e64 v16, s[0:1], 0, v11, s[0:1]
	v_subb_co_u32_e32 v4, vcc, v10, v4, vcc
	v_cmp_ne_u32_e64 s[0:1], 0, v12
	v_cmp_le_u32_e32 vcc, s25, v4
	v_cndmask_b32_e64 v12, v16, v14, s[0:1]
	v_cndmask_b32_e64 v14, 0, -1, vcc
	v_cmp_le_u32_e32 vcc, s24, v3
	v_cndmask_b32_e64 v3, 0, -1, vcc
	v_cmp_eq_u32_e32 vcc, s25, v4
	v_cndmask_b32_e32 v3, v14, v3, vcc
	v_cmp_ne_u32_e32 vcc, 0, v3
	v_cndmask_b32_e64 v3, v15, v13, s[0:1]
	v_cndmask_b32_e32 v4, v11, v12, vcc
	v_cndmask_b32_e32 v3, v8, v3, vcc
.LBB0_4:                                ;   in Loop: Header=BB0_2 Depth=1
	s_andn2_saveexec_b64 s[0:1], s[26:27]
	s_cbranch_execz .LBB0_6
; %bb.5:                                ;   in Loop: Header=BB0_2 Depth=1
	v_cvt_f32_u32_e32 v3, s24
	s_sub_i32 s26, 0, s24
	v_rcp_iflag_f32_e32 v3, v3
	v_mul_f32_e32 v3, 0x4f7ffffe, v3
	v_cvt_u32_f32_e32 v3, v3
	v_mul_lo_u32 v4, s26, v3
	v_mul_hi_u32 v4, v3, v4
	v_add_u32_e32 v3, v3, v4
	v_mul_hi_u32 v3, v9, v3
	v_mul_lo_u32 v4, v3, s24
	v_add_u32_e32 v8, 1, v3
	v_sub_u32_e32 v4, v9, v4
	v_subrev_u32_e32 v11, s24, v4
	v_cmp_le_u32_e32 vcc, s24, v4
	v_cndmask_b32_e32 v4, v4, v11, vcc
	v_cndmask_b32_e32 v3, v3, v8, vcc
	v_add_u32_e32 v8, 1, v3
	v_cmp_le_u32_e32 vcc, s24, v4
	v_cndmask_b32_e32 v3, v3, v8, vcc
	v_mov_b32_e32 v4, v7
.LBB0_6:                                ;   in Loop: Header=BB0_2 Depth=1
	s_or_b64 exec, exec, s[0:1]
	v_mul_lo_u32 v8, v4, s24
	v_mul_lo_u32 v13, v3, s25
	v_mad_u64_u32 v[11:12], s[0:1], v3, s24, 0
	s_load_dwordx2 s[0:1], s[6:7], 0x0
	s_load_dwordx2 s[24:25], s[2:3], 0x0
	v_add3_u32 v8, v12, v13, v8
	v_sub_co_u32_e32 v9, vcc, v9, v11
	v_subb_co_u32_e32 v8, vcc, v10, v8, vcc
	s_waitcnt lgkmcnt(0)
	v_mul_lo_u32 v10, s0, v8
	v_mul_lo_u32 v11, s1, v9
	v_mad_u64_u32 v[5:6], s[0:1], s0, v9, v[5:6]
	v_mul_lo_u32 v8, s24, v8
	v_mul_lo_u32 v12, s25, v9
	v_mad_u64_u32 v[1:2], s[0:1], s24, v9, v[1:2]
	s_add_u32 s22, s22, 1
	s_addc_u32 s23, s23, 0
	s_add_u32 s2, s2, 8
	v_add3_u32 v2, v12, v2, v8
	s_addc_u32 s3, s3, 0
	v_mov_b32_e32 v8, s10
	s_add_u32 s6, s6, 8
	v_mov_b32_e32 v9, s11
	s_addc_u32 s7, s7, 0
	v_cmp_ge_u64_e32 vcc, s[22:23], v[8:9]
	s_add_u32 s20, s20, 8
	v_add3_u32 v6, v11, v6, v10
	s_addc_u32 s21, s21, 0
	s_cbranch_vccnz .LBB0_9
; %bb.7:                                ;   in Loop: Header=BB0_2 Depth=1
	v_mov_b32_e32 v10, v4
	v_mov_b32_e32 v9, v3
	s_branch .LBB0_2
.LBB0_8:
	v_mov_b32_e32 v1, v5
	v_mov_b32_e32 v3, v9
	;; [unrolled: 1-line block ×4, first 2 shown]
.LBB0_9:
	s_load_dwordx2 s[0:1], s[4:5], 0x28
	s_lshl_b64 s[6:7], s[10:11], 3
	s_add_u32 s2, s18, s6
	s_addc_u32 s3, s19, s7
                                        ; implicit-def: $sgpr10
                                        ; implicit-def: $vgpr7
	s_waitcnt lgkmcnt(0)
	v_cmp_gt_u64_e32 vcc, s[0:1], v[3:4]
	v_cmp_le_u64_e64 s[0:1], s[0:1], v[3:4]
	s_and_saveexec_b64 s[4:5], s[0:1]
	s_xor_b64 s[0:1], exec, s[4:5]
; %bb.10:
	s_mov_b32 s4, 0x5050506
	v_mul_hi_u32 v5, v0, s4
	s_mov_b32 s10, 0
	v_mul_u32_u24_e32 v5, 51, v5
	v_sub_u32_e32 v7, v0, v5
                                        ; implicit-def: $vgpr0
                                        ; implicit-def: $vgpr5_vgpr6
; %bb.11:
	s_or_saveexec_b64 s[4:5], s[0:1]
	v_mov_b32_e32 v9, s10
                                        ; implicit-def: $vgpr29
                                        ; implicit-def: $vgpr11
                                        ; implicit-def: $vgpr30
                                        ; implicit-def: $vgpr12
                                        ; implicit-def: $vgpr31
                                        ; implicit-def: $vgpr13
                                        ; implicit-def: $vgpr14
                                        ; implicit-def: $vgpr8
                                        ; implicit-def: $vgpr27
                                        ; implicit-def: $vgpr15
                                        ; implicit-def: $vgpr25
                                        ; implicit-def: $vgpr16
                                        ; implicit-def: $vgpr24
                                        ; implicit-def: $vgpr17
                                        ; implicit-def: $vgpr23
                                        ; implicit-def: $vgpr19
                                        ; implicit-def: $vgpr41
                                        ; implicit-def: $vgpr18
                                        ; implicit-def: $vgpr40
                                        ; implicit-def: $vgpr37
                                        ; implicit-def: $vgpr39
                                        ; implicit-def: $vgpr32
                                        ; implicit-def: $vgpr38
                                        ; implicit-def: $vgpr28
                                        ; implicit-def: $vgpr33
                                        ; implicit-def: $vgpr26
                                        ; implicit-def: $vgpr34
                                        ; implicit-def: $vgpr22
                                        ; implicit-def: $vgpr35
                                        ; implicit-def: $vgpr21
                                        ; implicit-def: $vgpr36
                                        ; implicit-def: $vgpr20
	s_xor_b64 exec, exec, s[4:5]
	s_cbranch_execz .LBB0_13
; %bb.12:
	s_add_u32 s0, s16, s6
	s_addc_u32 s1, s17, s7
	s_load_dwordx2 s[0:1], s[0:1], 0x0
	s_mov_b32 s6, 0x5050506
	v_mul_hi_u32 v7, v0, s6
	v_lshlrev_b64 v[5:6], 2, v[5:6]
	s_waitcnt lgkmcnt(0)
	v_mul_lo_u32 v10, s1, v3
	v_mul_lo_u32 v11, s0, v4
	v_mad_u64_u32 v[8:9], s[0:1], s0, v3, 0
	v_mul_u32_u24_e32 v7, 51, v7
	v_sub_u32_e32 v7, v0, v7
	v_add3_u32 v9, v9, v11, v10
	v_lshlrev_b64 v[8:9], 2, v[8:9]
	v_mov_b32_e32 v0, s13
	v_add_co_u32_e64 v8, s[0:1], s12, v8
	v_addc_co_u32_e64 v0, s[0:1], v0, v9, s[0:1]
	v_add_co_u32_e64 v5, s[0:1], v8, v5
	v_addc_co_u32_e64 v0, s[0:1], v0, v6, s[0:1]
	v_lshlrev_b32_e32 v6, 2, v7
	v_add_co_u32_e64 v5, s[0:1], v5, v6
	v_addc_co_u32_e64 v6, s[0:1], 0, v0, s[0:1]
	global_load_dword v11, v[5:6], off offset:204
	global_load_dword v12, v[5:6], off offset:408
	;; [unrolled: 1-line block ×16, first 2 shown]
	global_load_dword v9, v[5:6], off
	s_waitcnt vmcnt(16)
	v_lshrrev_b32_e32 v29, 16, v11
	s_waitcnt vmcnt(15)
	v_lshrrev_b32_e32 v30, 16, v12
	;; [unrolled: 2-line block ×16, first 2 shown]
.LBB0_13:
	s_or_b64 exec, exec, s[4:5]
	s_waitcnt vmcnt(0)
	v_add_f16_e32 v0, v11, v9
	v_add_f16_sdwa v5, v29, v9 dst_sel:DWORD dst_unused:UNUSED_PAD src0_sel:DWORD src1_sel:WORD_1
	v_add_f16_e32 v0, v12, v0
	v_add_f16_e32 v5, v30, v5
	;; [unrolled: 1-line block ×31, first 2 shown]
	v_mad_u32_u24 v0, v7, 34, 0
	s_mov_b32 s11, 0x39e93b76
	v_add_f16_e32 v10, v29, v41
	v_sub_f16_e32 v41, v29, v41
	v_add_f16_e32 v43, v12, v37
	ds_write_b16 v0, v6
	v_pk_mul_f16 v6, v5, s11 op_sel_hi:[0,1]
	s_mov_b32 s19, 0xb964b5c8
	s_mov_b32 s10, 0x2de839e9
	v_sub_f16_e32 v18, v11, v18
	v_add_f16_e32 v11, v30, v40
	v_sub_f16_e32 v29, v12, v37
	v_sub_f16_e32 v37, v30, v40
	v_add_f16_e32 v40, v13, v32
	v_add_f16_e32 v12, v31, v39
	v_sub_f16_e32 v30, v13, v32
	v_sub_f16_e32 v39, v31, v39
	v_add_f16_e32 v44, v8, v28
	;; [unrolled: 4-line block ×6, first 2 shown]
	v_add_f16_e32 v17, v23, v36
	v_sub_f16_e32 v35, v19, v20
	v_sub_f16_e32 v23, v23, v36
	v_pk_fma_f16 v19, v41, s19, v6 op_sel_hi:[0,1,1] neg_lo:[1,0,0] neg_hi:[1,0,0]
	v_pk_mul_f16 v36, v43, s10 op_sel_hi:[0,1]
	s_mov_b32 s18, 0xbbf7b964
	s_mov_b32 s7, 0xb8d23722
	v_pk_add_f16 v19, v19, v9 op_sel_hi:[1,0]
	v_pk_fma_f16 v20, v37, s18, v36 op_sel_hi:[0,1,1] neg_lo:[1,0,0] neg_hi:[1,0,0]
	v_pk_mul_f16 v45, v40, s7 op_sel_hi:[0,1]
	s_mov_b32 s16, 0xba62bb29
	s_mov_b32 s6, 0xbbdd2de8
	v_pk_add_f16 v19, v20, v19
	v_pk_fma_f16 v20, v39, s16, v45 op_sel_hi:[0,1,1] neg_lo:[1,0,0] neg_hi:[1,0,0]
	v_pk_mul_f16 v46, v44, s6 op_sel_hi:[0,1]
	s_mov_b32 s17, 0xb1e1bbf7
	s_mov_b32 s12, 0xbacdb461
	v_pk_add_f16 v19, v20, v19
	;; [unrolled: 5-line block ×7, first 2 shown]
	v_pk_fma_f16 v20, v41, s47, v51 op_sel_hi:[0,1,1] neg_lo:[1,0,0] neg_hi:[1,0,0]
	v_pk_mul_f16 v52, v43, s1 op_sel_hi:[0,1]
	s_mov_b32 s48, 0xb1e1ba62
	s_mov_b32 s4, 0xb461bbdd
	v_pk_add_f16 v20, v20, v9 op_sel_hi:[1,0]
	v_pk_fma_f16 v21, v37, s48, v52 op_sel_hi:[0,1,1] neg_lo:[1,0,0] neg_hi:[1,0,0]
	v_pk_mul_f16 v53, v40, s4 op_sel_hi:[0,1]
	s_mov_b32 s49, 0x3bb231e1
	s_mov_b32 s5, 0x3b76b461
	v_pk_add_f16 v20, v21, v20
	v_pk_fma_f16 v21, v39, s49, v53 op_sel_hi:[0,1,1] neg_lo:[1,0,0] neg_hi:[1,0,0]
	v_pk_mul_f16 v54, v44, s5 op_sel_hi:[0,1]
	s_mov_b32 s50, 0x35c83bb2
	s_mov_b32 s26, 0x372239e9
	v_pk_add_f16 v20, v21, v20
	;; [unrolled: 5-line block ×7, first 2 shown]
	v_pk_fma_f16 v21, v41, s55, v59 op_sel_hi:[0,1,1] neg_lo:[1,0,0] neg_hi:[1,0,0]
	v_pk_mul_f16 v60, v43, s31 op_sel_hi:[0,1]
	s_mov_b32 s56, 0x3bb23836
	v_pk_add_f16 v21, v21, v9 op_sel_hi:[1,0]
	v_pk_fma_f16 v61, v37, s56, v60 op_sel_hi:[0,1,1] neg_lo:[1,0,0] neg_hi:[1,0,0]
	s_mov_b32 s33, 0x3b7639e9
	v_pk_add_f16 v21, v61, v21
	v_pk_mul_f16 v61, v40, s33 op_sel_hi:[0,1]
	s_mov_b32 s57, 0xb5c83964
	v_pk_fma_f16 v62, v39, s57, v61 op_sel_hi:[0,1,1] neg_lo:[1,0,0] neg_hi:[1,0,0]
	s_mov_b32 s34, 0xbacd3722
	v_pk_add_f16 v21, v62, v21
	v_pk_mul_f16 v62, v44, s34 op_sel_hi:[0,1]
	s_mov_b32 s58, 0xb836bb29
	;; [unrolled: 5-line block ×6, first 2 shown]
	s_mov_b32 s39, 0xbbddbacd
	v_pk_fma_f16 v67, v23, s62, v66 op_sel_hi:[0,1,1] neg_lo:[1,0,0] neg_hi:[1,0,0]
	v_pk_mul_f16 v5, v5, s39 op_sel_hi:[0,1]
	s_mov_b32 s63, 0xb1e1b836
	s_mov_b32 s40, 0x3b763722
	v_pk_add_f16 v21, v67, v21
	v_pk_fma_f16 v67, v41, s63, v5 op_sel_hi:[0,1,1] neg_lo:[1,0,0] neg_hi:[1,0,0]
	v_pk_mul_f16 v43, v43, s40 op_sel_hi:[0,1]
	s_mov_b32 s64, 0x35c83b29
	s_mov_b32 s41, 0xbacd2de8
	v_pk_add_f16 v67, v67, v9 op_sel_hi:[1,0]
	v_pk_fma_f16 v68, v37, s64, v43 op_sel_hi:[0,1,1] neg_lo:[1,0,0] neg_hi:[1,0,0]
	v_pk_mul_f16 v40, v40, s41 op_sel_hi:[0,1]
	s_mov_b32 s65, 0xb836bbf7
	s_mov_b32 s42, 0x39e9b8d2
	v_pk_add_f16 v67, v68, v67
	v_pk_fma_f16 v68, v39, s65, v40 op_sel_hi:[0,1,1] neg_lo:[1,0,0] neg_hi:[1,0,0]
	v_pk_mul_f16 v44, v44, s42 op_sel_hi:[0,1]
	s_mov_b32 s66, 0x39643a62
	s_mov_b32 s43, 0xb8d23b76
	v_pk_add_f16 v67, v68, v67
	v_pk_fma_f16 v68, v8, s66, v44 op_sel_hi:[0,1,1] neg_lo:[1,0,0] neg_hi:[1,0,0]
	v_pk_mul_f16 v28, v28, s43 op_sel_hi:[0,1]
	s_mov_b32 s67, 0xba62b5c8
	s_mov_b32 s44, 0x3722bbdd
	v_pk_add_f16 v67, v68, v67
	v_pk_fma_f16 v68, v26, s67, v28 op_sel_hi:[0,1,1] neg_lo:[1,0,0] neg_hi:[1,0,0]
	v_pk_mul_f16 v27, v27, s44 op_sel_hi:[0,1]
	s_mov_b32 s68, 0x3b29b1e1
	v_pk_add_f16 v67, v68, v67
	v_pk_fma_f16 v68, v25, s68, v27 op_sel_hi:[0,1,1] neg_lo:[1,0,0] neg_hi:[1,0,0]
	s_mov_b32 s45, 0xb46139e9
	v_pk_add_f16 v67, v68, v67
	v_pk_mul_f16 v68, v22, s45 op_sel_hi:[0,1]
	s_mov_b32 s69, 0xbbb23964
	s_mov_b32 s46, 0x2de8b461
	v_pk_fma_f16 v22, v24, s69, v68 op_sel_hi:[0,1,1] neg_lo:[1,0,0] neg_hi:[1,0,0]
	v_pk_mul_f16 v38, v38, s46 op_sel_hi:[0,1]
	s_mov_b32 s70, 0x3bf7bbb2
	v_pk_add_f16 v22, v22, v67
	v_pk_fma_f16 v67, v23, s70, v38 op_sel_hi:[0,1,1] neg_lo:[1,0,0] neg_hi:[1,0,0]
	v_pk_add_f16 v22, v67, v22
	v_pk_fma_f16 v5, v41, s63, v5 op_sel_hi:[0,1,1]
	ds_write_b128 v0, v[19:22] offset:2
	v_pk_add_f16 v5, v5, v9 op_sel_hi:[1,0]
	v_pk_fma_f16 v19, v37, s64, v43 op_sel_hi:[0,1,1]
	v_pk_add_f16 v5, v19, v5
	v_pk_fma_f16 v19, v39, s65, v40 op_sel_hi:[0,1,1]
	v_pk_add_f16 v5, v19, v5
	v_pk_fma_f16 v19, v8, s66, v44 op_sel_hi:[0,1,1]
	v_pk_add_f16 v5, v19, v5
	v_pk_fma_f16 v19, v26, s67, v28 op_sel_hi:[0,1,1]
	v_pk_add_f16 v5, v19, v5
	v_pk_fma_f16 v19, v25, s68, v27 op_sel_hi:[0,1,1]
	v_pk_add_f16 v5, v19, v5
	v_pk_fma_f16 v19, v24, s69, v68 op_sel_hi:[0,1,1]
	v_pk_add_f16 v5, v19, v5
	v_pk_fma_f16 v19, v23, s70, v38 op_sel_hi:[0,1,1]
	v_pk_add_f16 v5, v19, v5
	v_alignbit_b32 v19, v5, v5, 16
	v_pk_fma_f16 v5, v41, s55, v59 op_sel_hi:[0,1,1]
	v_pk_add_f16 v5, v5, v9 op_sel_hi:[1,0]
	v_pk_fma_f16 v20, v37, s56, v60 op_sel_hi:[0,1,1]
	v_pk_add_f16 v5, v20, v5
	v_pk_fma_f16 v20, v39, s57, v61 op_sel_hi:[0,1,1]
	v_pk_add_f16 v5, v20, v5
	v_pk_fma_f16 v20, v8, s58, v62 op_sel_hi:[0,1,1]
	v_pk_add_f16 v5, v20, v5
	v_pk_fma_f16 v20, v26, s59, v63 op_sel_hi:[0,1,1]
	v_pk_add_f16 v5, v20, v5
	v_pk_fma_f16 v20, v25, s60, v64 op_sel_hi:[0,1,1]
	v_pk_add_f16 v5, v20, v5
	v_pk_fma_f16 v20, v24, s61, v65 op_sel_hi:[0,1,1]
	v_pk_add_f16 v5, v20, v5
	v_pk_fma_f16 v20, v23, s62, v66 op_sel_hi:[0,1,1]
	v_pk_add_f16 v5, v20, v5
	v_alignbit_b32 v20, v5, v5, 16
	v_pk_fma_f16 v5, v41, s47, v51 op_sel_hi:[0,1,1]
	;; [unrolled: 17-line block ×3, first 2 shown]
	v_pk_add_f16 v5, v5, v9 op_sel_hi:[1,0]
	v_pk_fma_f16 v6, v37, s18, v36 op_sel_hi:[0,1,1]
	v_pk_add_f16 v5, v6, v5
	v_pk_fma_f16 v6, v39, s16, v45 op_sel_hi:[0,1,1]
	v_pk_add_f16 v5, v6, v5
	;; [unrolled: 2-line block ×7, first 2 shown]
	v_alignbit_b32 v22, v5, v5, 16
	v_lshlrev_b32_e32 v5, 5, v7
	v_sub_u32_e32 v6, v0, v5
	v_pk_mul_f16 v46, v18, s19 op_sel_hi:[0,1]
	s_load_dwordx2 s[2:3], s[2:3], 0x0
	ds_write_b128 v0, v[19:22] offset:18
	s_waitcnt lgkmcnt(0)
	; wave barrier
	s_waitcnt lgkmcnt(0)
	ds_read_u16 v8, v6
	ds_read_u16 v27, v6 offset:102
	ds_read_u16 v25, v6 offset:204
	;; [unrolled: 1-line block ×16, first 2 shown]
	s_waitcnt lgkmcnt(0)
	; wave barrier
	s_waitcnt lgkmcnt(0)
	ds_write_b16 v0, v42
	v_pk_fma_f16 v42, v10, s11, v46 op_sel_hi:[0,1,1]
	v_pk_mul_f16 v47, v29, s18 op_sel_hi:[0,1]
	v_pk_add_f16 v42, v42, v9 op_sel:[0,1]
	v_pk_fma_f16 v43, v11, s10, v47 op_sel_hi:[0,1,1]
	v_pk_mul_f16 v48, v30, s16 op_sel_hi:[0,1]
	v_pk_add_f16 v42, v43, v42
	v_pk_fma_f16 v43, v12, s7, v48 op_sel_hi:[0,1,1]
	v_pk_mul_f16 v49, v31, s17 op_sel_hi:[0,1]
	v_pk_add_f16 v42, v43, v42
	v_pk_fma_f16 v43, v13, s6, v49 op_sel_hi:[0,1,1]
	v_pk_mul_f16 v50, v32, s21 op_sel_hi:[0,1]
	v_pk_add_f16 v42, v43, v42
	v_pk_fma_f16 v43, v14, s12, v50 op_sel_hi:[0,1,1]
	v_pk_mul_f16 v51, v33, s22 op_sel_hi:[0,1]
	v_pk_add_f16 v42, v43, v42
	v_pk_fma_f16 v43, v15, s13, v51 op_sel_hi:[0,1,1]
	v_pk_mul_f16 v52, v34, s23 op_sel_hi:[0,1]
	v_pk_add_f16 v42, v43, v42
	v_pk_fma_f16 v43, v16, s20, v52 op_sel_hi:[0,1,1]
	v_pk_mul_f16 v53, v35, s25 op_sel_hi:[0,1]
	v_pk_add_f16 v42, v43, v42
	v_pk_fma_f16 v43, v17, s24, v53 op_sel_hi:[0,1,1]
	v_pk_mul_f16 v54, v18, s47 op_sel_hi:[0,1]
	v_pk_add_f16 v42, v43, v42
	v_pk_fma_f16 v43, v10, s0, v54 op_sel_hi:[0,1,1]
	v_pk_mul_f16 v55, v29, s48 op_sel_hi:[0,1]
	v_pk_add_f16 v43, v43, v9 op_sel:[0,1]
	v_pk_fma_f16 v44, v11, s1, v55 op_sel_hi:[0,1,1]
	v_pk_mul_f16 v56, v30, s49 op_sel_hi:[0,1]
	v_pk_add_f16 v43, v44, v43
	v_pk_fma_f16 v44, v12, s4, v56 op_sel_hi:[0,1,1]
	v_pk_mul_f16 v57, v31, s50 op_sel_hi:[0,1]
	v_pk_add_f16 v43, v44, v43
	v_pk_fma_f16 v44, v13, s5, v57 op_sel_hi:[0,1,1]
	v_pk_mul_f16 v58, v32, s51 op_sel_hi:[0,1]
	v_pk_add_f16 v43, v44, v43
	v_pk_fma_f16 v44, v14, s26, v58 op_sel_hi:[0,1,1]
	v_pk_mul_f16 v59, v33, s52 op_sel_hi:[0,1]
	v_pk_add_f16 v43, v44, v43
	v_pk_fma_f16 v44, v15, s27, v59 op_sel_hi:[0,1,1]
	v_pk_mul_f16 v60, v34, s53 op_sel_hi:[0,1]
	v_pk_add_f16 v43, v44, v43
	v_pk_fma_f16 v44, v16, s28, v60 op_sel_hi:[0,1,1]
	v_pk_mul_f16 v61, v35, s54 op_sel_hi:[0,1]
	v_pk_add_f16 v43, v44, v43
	v_pk_fma_f16 v44, v17, s29, v61 op_sel_hi:[0,1,1]
	v_pk_mul_f16 v62, v18, s55 op_sel_hi:[0,1]
	v_pk_add_f16 v43, v44, v43
	;; [unrolled: 24-line block ×3, first 2 shown]
	v_pk_fma_f16 v45, v10, s39, v18 op_sel_hi:[0,1,1]
	v_pk_mul_f16 v29, v29, s64 op_sel_hi:[0,1]
	v_pk_fma_f16 v18, v10, s39, v18 op_sel_hi:[0,1,1] neg_lo:[0,0,1] neg_hi:[0,0,1]
	v_pk_fma_f16 v70, v11, s40, v29 op_sel_hi:[0,1,1]
	v_pk_mul_f16 v30, v30, s65 op_sel_hi:[0,1]
	v_pk_add_f16 v18, v18, v9 op_sel:[0,1]
	v_pk_fma_f16 v29, v11, s40, v29 op_sel_hi:[0,1,1] neg_lo:[0,0,1] neg_hi:[0,0,1]
	v_pk_mul_f16 v31, v31, s66 op_sel_hi:[0,1]
	v_pk_add_f16 v18, v29, v18
	v_pk_fma_f16 v29, v12, s41, v30 op_sel_hi:[0,1,1] neg_lo:[0,0,1] neg_hi:[0,0,1]
	v_pk_mul_f16 v32, v32, s67 op_sel_hi:[0,1]
	v_pk_add_f16 v18, v29, v18
	;; [unrolled: 3-line block ×5, first 2 shown]
	v_pk_fma_f16 v29, v16, s45, v34 op_sel_hi:[0,1,1] neg_lo:[0,0,1] neg_hi:[0,0,1]
	v_pk_add_f16 v18, v29, v18
	v_pk_fma_f16 v29, v17, s46, v35 op_sel_hi:[0,1,1] neg_lo:[0,0,1] neg_hi:[0,0,1]
	v_pk_add_f16 v18, v29, v18
	v_pk_add_f16 v45, v45, v9 op_sel:[0,1]
	v_alignbit_b32 v29, v18, v18, 16
	v_pk_fma_f16 v18, v10, s30, v62 op_sel_hi:[0,1,1] neg_lo:[0,0,1] neg_hi:[0,0,1]
	v_pk_add_f16 v45, v70, v45
	v_pk_fma_f16 v70, v12, s41, v30 op_sel_hi:[0,1,1]
	v_pk_add_f16 v18, v18, v9 op_sel:[0,1]
	v_pk_fma_f16 v30, v11, s31, v63 op_sel_hi:[0,1,1] neg_lo:[0,0,1] neg_hi:[0,0,1]
	v_pk_add_f16 v18, v30, v18
	v_pk_fma_f16 v30, v12, s33, v64 op_sel_hi:[0,1,1] neg_lo:[0,0,1] neg_hi:[0,0,1]
	v_pk_add_f16 v18, v30, v18
	;; [unrolled: 2-line block ×7, first 2 shown]
	v_alignbit_b32 v30, v18, v18, 16
	v_pk_fma_f16 v18, v10, s0, v54 op_sel_hi:[0,1,1] neg_lo:[0,0,1] neg_hi:[0,0,1]
	v_pk_fma_f16 v10, v10, s11, v46 op_sel_hi:[0,1,1] neg_lo:[0,0,1] neg_hi:[0,0,1]
	v_pk_add_f16 v18, v18, v9 op_sel:[0,1]
	v_pk_add_f16 v9, v10, v9 op_sel:[0,1]
	v_pk_fma_f16 v10, v11, s10, v47 op_sel_hi:[0,1,1] neg_lo:[0,0,1] neg_hi:[0,0,1]
	v_pk_add_f16 v9, v10, v9
	v_pk_fma_f16 v10, v12, s7, v48 op_sel_hi:[0,1,1] neg_lo:[0,0,1] neg_hi:[0,0,1]
	v_pk_add_f16 v9, v10, v9
	v_pk_fma_f16 v10, v13, s6, v49 op_sel_hi:[0,1,1] neg_lo:[0,0,1] neg_hi:[0,0,1]
	v_pk_add_f16 v45, v70, v45
	v_pk_fma_f16 v70, v13, s42, v31 op_sel_hi:[0,1,1]
	v_pk_fma_f16 v31, v11, s1, v55 op_sel_hi:[0,1,1] neg_lo:[0,0,1] neg_hi:[0,0,1]
	v_pk_add_f16 v9, v10, v9
	v_pk_fma_f16 v10, v14, s12, v50 op_sel_hi:[0,1,1] neg_lo:[0,0,1] neg_hi:[0,0,1]
	v_pk_add_f16 v18, v31, v18
	;; [unrolled: 2-line block ×9, first 2 shown]
	s_movk_i32 s0, 0xf1
	v_pk_add_f16 v45, v70, v45
	v_pk_fma_f16 v70, v14, s43, v32 op_sel_hi:[0,1,1]
	v_pk_add_f16 v18, v31, v18
	v_pk_fma_f16 v31, v16, s28, v60 op_sel_hi:[0,1,1] neg_lo:[0,0,1] neg_hi:[0,0,1]
	v_alignbit_b32 v32, v9, v9, 16
	v_mul_lo_u16_sdwa v9, v7, s0 dst_sel:DWORD dst_unused:UNUSED_PAD src0_sel:BYTE_0 src1_sel:DWORD
	v_pk_add_f16 v45, v70, v45
	v_pk_fma_f16 v70, v15, s44, v33 op_sel_hi:[0,1,1]
	v_pk_add_f16 v18, v31, v18
	v_pk_fma_f16 v31, v17, s29, v61 op_sel_hi:[0,1,1] neg_lo:[0,0,1] neg_hi:[0,0,1]
	v_lshrrev_b16_e32 v33, 12, v9
	v_pk_add_f16 v45, v70, v45
	v_pk_fma_f16 v70, v16, s45, v34 op_sel_hi:[0,1,1]
	v_pk_add_f16 v18, v31, v18
	v_mul_lo_u16_e32 v9, 17, v33
	v_pk_add_f16 v45, v70, v45
	v_pk_fma_f16 v70, v17, s46, v35 op_sel_hi:[0,1,1]
	v_alignbit_b32 v31, v18, v18, 16
	v_sub_u16_e32 v18, v7, v9
	v_mov_b32_e32 v9, 6
	v_pk_add_f16 v45, v70, v45
	v_lshlrev_b32_sdwa v9, v9, v18 dst_sel:DWORD dst_unused:UNUSED_PAD src0_sel:DWORD src1_sel:BYTE_0
	ds_write_b128 v0, v[42:45] offset:2
	ds_write_b128 v0, v[29:32] offset:18
	s_waitcnt lgkmcnt(0)
	; wave barrier
	s_waitcnt lgkmcnt(0)
	global_load_dwordx4 v[10:13], v9, s[8:9]
	global_load_dwordx4 v[14:17], v9, s[8:9] offset:16
	global_load_dwordx4 v[42:45], v9, s[8:9] offset:32
	;; [unrolled: 1-line block ×3, first 2 shown]
	ds_read_u16 v9, v6
	ds_read_u16 v29, v6 offset:102
	ds_read_u16 v30, v6 offset:204
	;; [unrolled: 1-line block ×16, first 2 shown]
	s_movk_i32 s27, 0x3722
	s_mov_b32 s29, 0xb8d2
	s_movk_i32 s26, 0x2de8
	s_mov_b32 s31, 0xbbdd
	s_mov_b32 s28, 0xb461
	;; [unrolled: 1-line block ×3, first 2 shown]
	s_movk_i32 s34, 0x3b76
	s_movk_i32 s33, 0x39e9
	v_mul_u32_u24_e32 v33, 0x242, v33
	s_waitcnt lgkmcnt(0)
	; wave barrier
	s_waitcnt lgkmcnt(0)
	v_sub_u32_e32 v5, 0, v5
	v_cmp_gt_u32_e64 s[0:1], 34, v7
	v_add_u32_e32 v0, v0, v5
	s_waitcnt vmcnt(3)
	v_mul_f16_sdwa v31, v29, v10 dst_sel:DWORD dst_unused:UNUSED_PAD src0_sel:DWORD src1_sel:WORD_1
	v_fma_f16 v34, v27, v10, -v31
	v_mul_f16_sdwa v27, v27, v10 dst_sel:DWORD dst_unused:UNUSED_PAD src0_sel:DWORD src1_sel:WORD_1
	v_fma_f16 v35, v29, v10, v27
	v_mul_f16_sdwa v10, v30, v11 dst_sel:DWORD dst_unused:UNUSED_PAD src0_sel:DWORD src1_sel:WORD_1
	v_fma_f16 v31, v25, v11, -v10
	v_mul_f16_sdwa v10, v25, v11 dst_sel:DWORD dst_unused:UNUSED_PAD src0_sel:DWORD src1_sel:WORD_1
	v_fma_f16 v32, v30, v11, v10
	;; [unrolled: 4-line block ×4, first 2 shown]
	s_waitcnt vmcnt(2)
	v_mul_f16_sdwa v10, v52, v14 dst_sel:DWORD dst_unused:UNUSED_PAD src0_sel:DWORD src1_sel:WORD_1
	v_fma_f16 v23, v19, v14, -v10
	v_mul_f16_sdwa v10, v19, v14 dst_sel:DWORD dst_unused:UNUSED_PAD src0_sel:DWORD src1_sel:WORD_1
	v_fma_f16 v24, v52, v14, v10
	v_mul_f16_sdwa v10, v53, v15 dst_sel:DWORD dst_unused:UNUSED_PAD src0_sel:DWORD src1_sel:WORD_1
	v_fma_f16 v19, v20, v15, -v10
	v_mul_f16_sdwa v10, v20, v15 dst_sel:DWORD dst_unused:UNUSED_PAD src0_sel:DWORD src1_sel:WORD_1
	v_fma_f16 v20, v53, v15, v10
	;; [unrolled: 4-line block ×3, first 2 shown]
	v_mul_f16_sdwa v10, v55, v17 dst_sel:DWORD dst_unused:UNUSED_PAD src0_sel:DWORD src1_sel:WORD_1
	v_mul_f16_sdwa v11, v40, v17 dst_sel:DWORD dst_unused:UNUSED_PAD src0_sel:DWORD src1_sel:WORD_1
	s_waitcnt vmcnt(1)
	v_mul_f16_sdwa v16, v57, v43 dst_sel:DWORD dst_unused:UNUSED_PAD src0_sel:DWORD src1_sel:WORD_1
	v_fma_f16 v10, v40, v17, -v10
	v_fma_f16 v11, v55, v17, v11
	v_mul_f16_sdwa v12, v56, v42 dst_sel:DWORD dst_unused:UNUSED_PAD src0_sel:DWORD src1_sel:WORD_1
	v_mul_f16_sdwa v13, v26, v42 dst_sel:DWORD dst_unused:UNUSED_PAD src0_sel:DWORD src1_sel:WORD_1
	v_fma_f16 v16, v21, v43, -v16
	v_mul_f16_sdwa v17, v21, v43 dst_sel:DWORD dst_unused:UNUSED_PAD src0_sel:DWORD src1_sel:WORD_1
	v_mul_f16_sdwa v21, v58, v44 dst_sel:DWORD dst_unused:UNUSED_PAD src0_sel:DWORD src1_sel:WORD_1
	v_fma_f16 v12, v26, v42, -v12
	v_fma_f16 v13, v56, v42, v13
	v_fma_f16 v21, v22, v44, -v21
	v_mul_f16_sdwa v22, v22, v44 dst_sel:DWORD dst_unused:UNUSED_PAD src0_sel:DWORD src1_sel:WORD_1
	v_mul_f16_sdwa v26, v59, v45 dst_sel:DWORD dst_unused:UNUSED_PAD src0_sel:DWORD src1_sel:WORD_1
	s_waitcnt vmcnt(0)
	v_mul_f16_sdwa v42, v62, v48 dst_sel:DWORD dst_unused:UNUSED_PAD src0_sel:DWORD src1_sel:WORD_1
	v_fma_f16 v22, v58, v44, v22
	v_fma_f16 v26, v28, v45, -v26
	v_mul_f16_sdwa v28, v28, v45 dst_sel:DWORD dst_unused:UNUSED_PAD src0_sel:DWORD src1_sel:WORD_1
	v_fma_f16 v44, v37, v48, -v42
	v_mul_f16_sdwa v37, v37, v48 dst_sel:DWORD dst_unused:UNUSED_PAD src0_sel:DWORD src1_sel:WORD_1
	v_fma_f16 v28, v59, v45, v28
	v_fma_f16 v45, v62, v48, v37
	v_mul_f16_sdwa v37, v63, v49 dst_sel:DWORD dst_unused:UNUSED_PAD src0_sel:DWORD src1_sel:WORD_1
	v_fma_f16 v50, v36, v49, -v37
	v_mul_f16_sdwa v36, v36, v49 dst_sel:DWORD dst_unused:UNUSED_PAD src0_sel:DWORD src1_sel:WORD_1
	v_mul_f16_sdwa v40, v60, v46 dst_sel:DWORD dst_unused:UNUSED_PAD src0_sel:DWORD src1_sel:WORD_1
	v_fma_f16 v52, v63, v49, v36
	v_fma_f16 v40, v39, v46, -v40
	v_mul_f16_sdwa v39, v39, v46 dst_sel:DWORD dst_unused:UNUSED_PAD src0_sel:DWORD src1_sel:WORD_1
	v_mul_f16_sdwa v41, v61, v47 dst_sel:DWORD dst_unused:UNUSED_PAD src0_sel:DWORD src1_sel:WORD_1
	v_sub_f16_e32 v42, v35, v52
	v_fma_f16 v17, v57, v43, v17
	v_fma_f16 v39, v60, v46, v39
	v_fma_f16 v41, v38, v47, -v41
	v_mul_f16_sdwa v38, v38, v47 dst_sel:DWORD dst_unused:UNUSED_PAD src0_sel:DWORD src1_sel:WORD_1
	v_add_f16_e32 v37, v34, v50
	v_mul_f16_e32 v43, 0xbb29, v42
	v_sub_f16_e32 v60, v32, v45
	v_fma_f16 v38, v61, v47, v38
	v_fma_f16 v46, v37, s27, -v43
	v_fma_f16 v43, v37, s27, v43
	v_add_f16_e32 v59, v31, v44
	v_mul_f16_e32 v61, 0xba62, v60
	v_add_f16_e32 v43, v8, v43
	v_mul_f16_e32 v47, 0xbbf7, v42
	v_fma_f16 v62, v59, s29, -v61
	v_fma_f16 v61, v59, s29, v61
	v_add_f16_e32 v46, v8, v46
	v_fma_f16 v48, v37, s26, -v47
	v_fma_f16 v47, v37, s26, v47
	v_add_f16_e32 v43, v61, v43
	v_mul_f16_e32 v61, 0xb1e1, v60
	v_add_f16_e32 v47, v8, v47
	v_mul_f16_e32 v49, 0xbbb2, v42
	v_add_f16_e32 v46, v62, v46
	v_fma_f16 v62, v59, s31, -v61
	v_fma_f16 v61, v59, s31, v61
	v_add_f16_e32 v48, v8, v48
	v_fma_f16 v51, v37, s28, -v49
	v_fma_f16 v49, v37, s28, v49
	v_add_f16_e32 v47, v61, v47
	v_mul_f16_e32 v61, 0x3836, v60
	v_add_f16_e32 v49, v8, v49
	v_mul_f16_e32 v53, 0xba62, v42
	v_add_f16_e32 v48, v62, v48
	;; [unrolled: 10-line block ×4, first 2 shown]
	v_fma_f16 v62, v59, s27, -v61
	v_fma_f16 v61, v59, s27, v61
	v_add_f16_e32 v56, v8, v56
	v_fma_f16 v58, v37, s31, -v57
	v_add_f16_e32 v55, v61, v55
	v_mul_f16_e32 v61, 0x35c8, v60
	v_add_f16_e32 v58, v8, v58
	v_fma_f16 v57, v37, s31, v57
	v_add_f16_e32 v56, v62, v56
	v_fma_f16 v62, v59, s34, -v61
	v_add_f16_e32 v57, v8, v57
	v_add_f16_e32 v58, v62, v58
	v_fma_f16 v61, v59, s34, v61
	v_sub_f16_e32 v62, v30, v38
	v_add_f16_e32 v57, v61, v57
	v_add_f16_e32 v61, v29, v41
	v_mul_f16_e32 v63, 0x31e1, v62
	v_fma_f16 v64, v61, s31, -v63
	v_fma_f16 v63, v61, s31, v63
	v_add_f16_e32 v43, v63, v43
	v_mul_f16_e32 v63, 0x3bb2, v62
	v_add_f16_e32 v46, v64, v46
	v_fma_f16 v64, v61, s28, -v63
	v_fma_f16 v63, v61, s28, v63
	v_add_f16_e32 v47, v63, v47
	v_mul_f16_e32 v63, 0x3964, v62
	v_add_f16_e32 v48, v64, v48
	v_fma_f16 v64, v61, s33, -v63
	v_fma_f16 v63, v61, s33, v63
	v_add_f16_e32 v49, v63, v49
	v_mul_f16_e32 v63, 0xb5c8, v62
	v_add_f16_e32 v51, v64, v51
	v_fma_f16 v64, v61, s34, -v63
	v_fma_f16 v63, v61, s34, v63
	v_add_f16_e32 v53, v63, v53
	v_mul_f16_e32 v63, 0xbbf7, v62
	v_add_f16_e32 v54, v64, v54
	v_fma_f16 v64, v61, s26, -v63
	v_fma_f16 v63, v61, s26, v63
	v_add_f16_e32 v55, v63, v55
	v_mul_f16_e32 v63, 0xb836, v62
	v_add_f16_e32 v56, v64, v56
	v_fma_f16 v64, v61, s30, -v63
	v_add_f16_e32 v58, v64, v58
	v_fma_f16 v63, v61, s30, v63
	v_sub_f16_e32 v64, v27, v39
	v_add_f16_e32 v57, v63, v57
	v_add_f16_e32 v63, v25, v40
	v_mul_f16_e32 v65, 0x3bb2, v64
	v_fma_f16 v66, v63, s28, -v65
	v_fma_f16 v65, v63, s28, v65
	v_add_f16_e32 v43, v65, v43
	v_mul_f16_e32 v65, 0x35c8, v64
	v_add_f16_e32 v46, v66, v46
	v_fma_f16 v66, v63, s34, -v65
	v_fma_f16 v65, v63, s34, v65
	v_add_f16_e32 v47, v65, v47
	v_mul_f16_e32 v65, 0xbb29, v64
	v_add_f16_e32 v48, v66, v48
	v_fma_f16 v66, v63, s27, -v65
	v_fma_f16 v65, v63, s27, v65
	v_add_f16_e32 v49, v65, v49
	v_mul_f16_e32 v65, 0xb836, v64
	v_add_f16_e32 v51, v66, v51
	v_fma_f16 v66, v63, s30, -v65
	v_fma_f16 v65, v63, s30, v65
	v_add_f16_e32 v53, v65, v53
	v_mul_f16_e32 v65, 0x3a62, v64
	v_add_f16_e32 v54, v66, v54
	v_fma_f16 v66, v63, s29, -v65
	v_fma_f16 v65, v63, s29, v65
	v_add_f16_e32 v55, v65, v55
	v_mul_f16_e32 v65, 0x3964, v64
	v_add_f16_e32 v56, v66, v56
	v_fma_f16 v66, v63, s33, -v65
	;; [unrolled: 32-line block ×4, first 2 shown]
	v_add_f16_e32 v58, v70, v58
	v_fma_f16 v69, v67, s27, v69
	v_sub_f16_e32 v70, v15, v17
	v_pk_mul_f16 v42, v42, s19 op_sel_hi:[0,1]
	v_add_f16_e32 v57, v69, v57
	v_add_f16_e32 v69, v14, v16
	v_mul_f16_e32 v71, 0xbbf7, v70
	v_pk_fma_f16 v73, v37, s11, v42 op_sel_hi:[0,1,1] neg_lo:[0,0,1] neg_hi:[0,0,1]
	v_pk_fma_f16 v37, v37, s11, v42 op_sel_hi:[0,1,1]
	v_add_f16_e32 v36, v8, v34
	v_fma_f16 v72, v69, s26, -v71
	v_fma_f16 v71, v69, s26, v71
	v_add_f16_e32 v74, v8, v73
	v_add_f16_sdwa v73, v8, v73 dst_sel:DWORD dst_unused:UNUSED_PAD src0_sel:DWORD src1_sel:WORD_1
	v_pk_add_f16 v8, v8, v37 op_sel_hi:[0,1]
	v_pk_mul_f16 v37, v60, s18 op_sel_hi:[0,1]
	v_add_f16_e32 v43, v71, v43
	v_mul_f16_e32 v71, 0x3a62, v70
	v_pk_fma_f16 v42, v59, s10, v37 op_sel_hi:[0,1,1] neg_lo:[0,0,1] neg_hi:[0,0,1]
	v_pk_fma_f16 v37, v59, s10, v37 op_sel_hi:[0,1,1]
	v_add_f16_e32 v46, v72, v46
	v_fma_f16 v72, v69, s29, -v71
	v_fma_f16 v71, v69, s29, v71
	v_pk_add_f16 v8, v37, v8
	v_pk_mul_f16 v37, v62, s16 op_sel_hi:[0,1]
	v_add_f16_e32 v47, v71, v47
	v_mul_f16_e32 v71, 0xb5c8, v70
	v_pk_fma_f16 v59, v61, s7, v37 op_sel_hi:[0,1,1] neg_lo:[0,0,1] neg_hi:[0,0,1]
	v_pk_fma_f16 v37, v61, s7, v37 op_sel_hi:[0,1,1]
	v_add_f16_e32 v48, v72, v48
	v_fma_f16 v72, v69, s34, -v71
	v_fma_f16 v71, v69, s34, v71
	v_add_f16_e32 v60, v42, v74
	v_add_f16_sdwa v42, v42, v73 dst_sel:DWORD dst_unused:UNUSED_PAD src0_sel:WORD_1 src1_sel:DWORD
	v_pk_add_f16 v8, v37, v8
	v_pk_mul_f16 v37, v64, s17 op_sel_hi:[0,1]
	v_add_f16_e32 v49, v71, v49
	v_mul_f16_e32 v71, 0xb1e1, v70
	v_add_f16_e32 v60, v59, v60
	v_add_f16_sdwa v42, v59, v42 dst_sel:DWORD dst_unused:UNUSED_PAD src0_sel:WORD_1 src1_sel:DWORD
	v_pk_fma_f16 v59, v63, s6, v37 op_sel_hi:[0,1,1] neg_lo:[0,0,1] neg_hi:[0,0,1]
	v_pk_fma_f16 v37, v63, s6, v37 op_sel_hi:[0,1,1]
	v_add_f16_e32 v51, v72, v51
	v_fma_f16 v72, v69, s31, -v71
	v_fma_f16 v71, v69, s31, v71
	v_pk_add_f16 v8, v37, v8
	v_pk_mul_f16 v37, v66, s21 op_sel_hi:[0,1]
	v_add_f16_e32 v53, v71, v53
	v_mul_f16_e32 v71, 0x3964, v70
	v_add_f16_e32 v60, v59, v60
	v_add_f16_sdwa v42, v59, v42 dst_sel:DWORD dst_unused:UNUSED_PAD src0_sel:WORD_1 src1_sel:DWORD
	v_pk_fma_f16 v59, v65, s12, v37 op_sel_hi:[0,1,1] neg_lo:[0,0,1] neg_hi:[0,0,1]
	v_pk_fma_f16 v37, v65, s12, v37 op_sel_hi:[0,1,1]
	v_add_f16_e32 v54, v72, v54
	v_fma_f16 v72, v69, s33, -v71
	v_fma_f16 v71, v69, s33, v71
	v_pk_add_f16 v8, v37, v8
	v_pk_mul_f16 v37, v68, s22 op_sel_hi:[0,1]
	v_add_f16_e32 v55, v71, v55
	v_mul_f16_e32 v71, 0xbbb2, v70
	v_add_f16_e32 v60, v59, v60
	v_add_f16_sdwa v42, v59, v42 dst_sel:DWORD dst_unused:UNUSED_PAD src0_sel:WORD_1 src1_sel:DWORD
	v_pk_fma_f16 v59, v67, s13, v37 op_sel_hi:[0,1,1] neg_lo:[0,0,1] neg_hi:[0,0,1]
	v_pk_fma_f16 v37, v67, s13, v37 op_sel_hi:[0,1,1]
	v_add_f16_e32 v56, v72, v56
	v_fma_f16 v72, v69, s28, -v71
	v_pk_add_f16 v8, v37, v8
	v_pk_mul_f16 v37, v70, s23 op_sel_hi:[0,1]
	v_add_f16_e32 v58, v72, v58
	v_fma_f16 v71, v69, s28, v71
	v_sub_f16_e32 v72, v11, v13
	v_add_f16_e32 v60, v59, v60
	v_add_f16_sdwa v42, v59, v42 dst_sel:DWORD dst_unused:UNUSED_PAD src0_sel:WORD_1 src1_sel:DWORD
	v_pk_fma_f16 v59, v69, s20, v37 op_sel_hi:[0,1,1] neg_lo:[0,0,1] neg_hi:[0,0,1]
	v_pk_fma_f16 v37, v69, s20, v37 op_sel_hi:[0,1,1]
	v_add_f16_e32 v57, v71, v57
	v_add_f16_e32 v71, v10, v12
	v_pk_add_f16 v8, v37, v8
	v_pk_mul_f16 v37, v72, s25 op_sel_hi:[0,1]
	v_add_f16_e32 v60, v59, v60
	v_add_f16_sdwa v42, v59, v42 dst_sel:DWORD dst_unused:UNUSED_PAD src0_sel:WORD_1 src1_sel:DWORD
	v_pk_fma_f16 v59, v71, s24, v37 op_sel_hi:[0,1,1] neg_lo:[0,0,1] neg_hi:[0,0,1]
	v_pk_fma_f16 v37, v71, s24, v37 op_sel_hi:[0,1,1]
	v_add_f16_e32 v36, v36, v31
	v_pk_add_f16 v8, v37, v8
	v_mul_f16_e32 v37, 0xb836, v72
	v_add_f16_e32 v36, v36, v29
	v_add_f16_e32 v60, v59, v60
	v_add_f16_sdwa v42, v59, v42 dst_sel:DWORD dst_unused:UNUSED_PAD src0_sel:WORD_1 src1_sel:DWORD
	v_fma_f16 v59, v71, s30, -v37
	v_fma_f16 v37, v71, s30, v37
	v_add_f16_e32 v36, v36, v25
	v_add_f16_e32 v37, v37, v43
	v_mul_f16_e32 v43, 0x3964, v72
	v_add_f16_e32 v36, v36, v23
	v_add_f16_e32 v46, v59, v46
	v_fma_f16 v59, v71, s33, -v43
	v_fma_f16 v43, v71, s33, v43
	v_add_f16_e32 v36, v36, v19
	v_add_f16_e32 v43, v43, v47
	v_mul_f16_e32 v47, 0xba62, v72
	v_add_f16_e32 v36, v36, v14
	v_add_f16_e32 v48, v59, v48
	;; [unrolled: 7-line block ×5, first 2 shown]
	v_fma_f16 v59, v71, s26, -v55
	v_fma_f16 v55, v71, s26, v55
	v_add_f16_e32 v36, v36, v41
	v_add_f16_e32 v55, v55, v57
	v_mov_b32_e32 v57, 1
	v_add_f16_e32 v36, v36, v44
	v_lshlrev_b32_sdwa v18, v57, v18 dst_sel:DWORD dst_unused:UNUSED_PAD src0_sel:DWORD src1_sel:BYTE_0
	v_add_f16_e32 v36, v36, v50
	v_add_f16_e32 v59, v59, v58
	v_add3_u32 v58, 0, v33, v18
	ds_write_b16 v58, v36
	ds_write_b16 v58, v60 offset:34
	ds_write_b16 v58, v42 offset:68
	;; [unrolled: 1-line block ×14, first 2 shown]
	ds_write_b16_d16_hi v58, v8 offset:510
	ds_write_b16 v58, v8 offset:544
	s_waitcnt lgkmcnt(0)
	; wave barrier
	s_waitcnt lgkmcnt(0)
	ds_read_u16 v43, v6 offset:680
	ds_read_u16 v48, v6 offset:782
	ds_read_u16 v33, v6
	ds_read_u16 v37, v6 offset:102
	ds_read_u16 v47, v6 offset:204
	;; [unrolled: 1-line block ×12, first 2 shown]
                                        ; implicit-def: $vgpr18
	s_and_saveexec_b64 s[4:5], s[0:1]
	s_cbranch_execz .LBB0_15
; %bb.14:
	ds_read_u16 v5, v0 offset:510
	ds_read_u16 v6, v0 offset:1088
	;; [unrolled: 1-line block ×3, first 2 shown]
	s_mov_b32 s35, 0x5040100
	s_waitcnt lgkmcnt(1)
	v_perm_b32 v8, v5, v6, s35
.LBB0_15:
	s_or_b64 exec, exec, s[4:5]
	v_add_f16_e32 v5, v9, v35
	v_add_f16_e32 v5, v5, v32
	;; [unrolled: 1-line block ×13, first 2 shown]
	v_sub_f16_e32 v34, v34, v50
	v_add_f16_e32 v5, v5, v38
	v_add_f16_e32 v6, v35, v52
	v_mul_f16_e32 v35, 0xbb29, v34
	v_sub_f16_e32 v31, v31, v44
	v_add_f16_e32 v5, v5, v45
	v_fma_f16 v50, v6, s27, v35
	v_fma_f16 v35, v6, s27, -v35
	v_add_f16_e32 v32, v32, v45
	v_mul_f16_e32 v44, 0xba62, v31
	v_add_f16_e32 v5, v5, v52
	v_add_f16_e32 v35, v9, v35
	v_mul_f16_e32 v52, 0xbbf7, v34
	v_fma_f16 v45, v32, s29, v44
	v_fma_f16 v44, v32, s29, -v44
	v_sub_f16_e32 v29, v29, v41
	v_add_f16_e32 v50, v9, v50
	v_fma_f16 v59, v6, s26, v52
	v_fma_f16 v52, v6, s26, -v52
	v_add_f16_e32 v35, v44, v35
	v_mul_f16_e32 v44, 0xb1e1, v31
	v_add_f16_e32 v30, v30, v38
	v_mul_f16_e32 v38, 0x31e1, v29
	;; [unrolled: 2-line block ×3, first 2 shown]
	v_add_f16_e32 v45, v45, v50
	v_fma_f16 v50, v32, s31, v44
	v_fma_f16 v44, v32, s31, -v44
	v_fma_f16 v41, v30, s31, v38
	v_fma_f16 v38, v30, s31, -v38
	v_sub_f16_e32 v25, v25, v40
	v_add_f16_e32 v59, v9, v59
	v_fma_f16 v61, v6, s28, v60
	v_fma_f16 v60, v6, s28, -v60
	v_add_f16_e32 v44, v44, v52
	v_mul_f16_e32 v52, 0x3836, v31
	v_add_f16_e32 v35, v38, v35
	v_mul_f16_e32 v38, 0x3bb2, v29
	;; [unrolled: 2-line block ×4, first 2 shown]
	v_mul_f16_e32 v64, 0xb836, v34
	v_mul_f16_e32 v66, 0xb1e1, v34
	v_add_f16_e32 v50, v50, v59
	v_fma_f16 v59, v32, s30, v52
	v_fma_f16 v52, v32, s30, -v52
	v_add_f16_e32 v41, v41, v45
	v_fma_f16 v45, v30, s28, v38
	v_fma_f16 v38, v30, s28, -v38
	v_fma_f16 v40, v27, s28, v39
	v_fma_f16 v39, v27, s28, -v39
	v_sub_f16_e32 v23, v23, v26
	v_sub_f16_e32 v10, v10, v12
	v_pk_mul_f16 v12, v34, s19 op_sel_hi:[0,1]
	v_add_f16_e32 v61, v9, v61
	v_fma_f16 v63, v6, s29, v62
	v_fma_f16 v62, v6, s29, -v62
	v_fma_f16 v65, v6, s30, v64
	v_fma_f16 v64, v6, s30, -v64
	;; [unrolled: 2-line block ×3, first 2 shown]
	v_add_f16_e32 v52, v52, v60
	v_mul_f16_e32 v60, 0x3bb2, v31
	v_add_f16_e32 v38, v38, v44
	v_mul_f16_e32 v44, 0x3964, v29
	;; [unrolled: 2-line block ×4, first 2 shown]
	v_add_f16_e32 v11, v11, v13
	v_pk_fma_f16 v13, v6, s11, v12 op_sel_hi:[0,1,1]
	v_pk_fma_f16 v6, v6, s11, v12 op_sel_hi:[0,1,1] neg_lo:[0,0,1] neg_hi:[0,0,1]
	v_add_f16_e32 v63, v9, v63
	v_add_f16_e32 v62, v9, v62
	;; [unrolled: 1-line block ×7, first 2 shown]
	v_fma_f16 v61, v32, s28, v60
	v_fma_f16 v60, v32, s28, -v60
	v_add_f16_e32 v45, v45, v50
	v_fma_f16 v50, v30, s33, v44
	v_fma_f16 v44, v30, s33, -v44
	v_add_f16_e32 v40, v40, v41
	v_fma_f16 v41, v27, s34, v39
	v_fma_f16 v39, v27, s34, -v39
	v_fma_f16 v28, v24, s33, v26
	v_fma_f16 v26, v24, s33, -v26
	v_sub_f16_e32 v19, v19, v21
	v_add_f16_e32 v34, v9, v13
	v_add_f16_sdwa v13, v9, v13 dst_sel:DWORD dst_unused:UNUSED_PAD src0_sel:DWORD src1_sel:WORD_1
	v_pk_add_f16 v6, v9, v6 op_sel_hi:[0,1]
	v_pk_mul_f16 v9, v31, s18 op_sel_hi:[0,1]
	v_add_f16_e32 v60, v60, v62
	v_mul_f16_e32 v62, 0x3b29, v31
	v_add_f16_e32 v44, v44, v52
	v_mul_f16_e32 v52, 0xb5c8, v29
	;; [unrolled: 2-line block ×5, first 2 shown]
	v_pk_fma_f16 v12, v32, s10, v9 op_sel_hi:[0,1,1]
	v_pk_fma_f16 v9, v32, s10, v9 op_sel_hi:[0,1,1] neg_lo:[0,0,1] neg_hi:[0,0,1]
	v_add_f16_e32 v61, v61, v63
	v_fma_f16 v63, v32, s27, v62
	v_fma_f16 v62, v32, s27, -v62
	v_add_f16_e32 v50, v50, v59
	v_fma_f16 v59, v30, s34, v52
	v_fma_f16 v52, v30, s34, -v52
	;; [unrolled: 3-line block ×4, first 2 shown]
	v_fma_f16 v22, v20, s34, v21
	v_fma_f16 v21, v20, s34, -v21
	v_sub_f16_e32 v14, v14, v16
	v_pk_add_f16 v6, v9, v6
	v_pk_mul_f16 v9, v29, s16 op_sel_hi:[0,1]
	v_add_f16_e32 v62, v62, v64
	v_mul_f16_e32 v64, 0x35c8, v31
	v_add_f16_e32 v52, v52, v60
	v_mul_f16_e32 v60, 0xbbf7, v29
	;; [unrolled: 2-line block ×6, first 2 shown]
	v_add_f16_e32 v31, v12, v34
	v_add_f16_sdwa v12, v12, v13 dst_sel:DWORD dst_unused:UNUSED_PAD src0_sel:WORD_1 src1_sel:DWORD
	v_pk_fma_f16 v13, v30, s7, v9 op_sel_hi:[0,1,1]
	v_pk_fma_f16 v9, v30, s7, v9 op_sel_hi:[0,1,1] neg_lo:[0,0,1] neg_hi:[0,0,1]
	v_add_f16_e32 v59, v59, v61
	v_fma_f16 v61, v30, s26, v60
	v_fma_f16 v60, v30, s26, -v60
	v_add_f16_e32 v45, v45, v50
	v_fma_f16 v50, v27, s30, v44
	v_fma_f16 v44, v27, s30, -v44
	;; [unrolled: 3-line block ×4, first 2 shown]
	v_fma_f16 v17, v15, s26, v16
	v_fma_f16 v16, v15, s26, -v16
	v_pk_add_f16 v6, v9, v6
	v_pk_mul_f16 v9, v25, s17 op_sel_hi:[0,1]
	v_add_f16_e32 v60, v60, v62
	v_mul_f16_e32 v62, 0xb836, v29
	v_add_f16_e32 v44, v44, v52
	v_mul_f16_e32 v52, 0x3a62, v25
	v_add_f16_e32 v38, v38, v39
	v_mul_f16_e32 v39, 0x3bf7, v23
	v_add_f16_e32 v26, v26, v35
	v_mul_f16_e32 v35, 0x3bf7, v19
	v_add_f16_e32 v16, v16, v21
	v_mul_f16_e32 v21, 0x3a62, v14
	v_add_f16_e32 v29, v13, v31
	v_add_f16_sdwa v12, v13, v12 dst_sel:DWORD dst_unused:UNUSED_PAD src0_sel:WORD_1 src1_sel:DWORD
	v_pk_fma_f16 v13, v27, s6, v9 op_sel_hi:[0,1,1]
	v_pk_fma_f16 v9, v27, s6, v9 op_sel_hi:[0,1,1] neg_lo:[0,0,1] neg_hi:[0,0,1]
	v_add_f16_e32 v50, v50, v59
	v_fma_f16 v59, v27, s29, v52
	v_fma_f16 v52, v27, s29, -v52
	v_add_f16_e32 v41, v41, v45
	v_fma_f16 v45, v24, s26, v39
	v_fma_f16 v39, v24, s26, -v39
	;; [unrolled: 3-line block ×4, first 2 shown]
	v_pk_add_f16 v6, v9, v6
	v_pk_mul_f16 v9, v23, s21 op_sel_hi:[0,1]
	v_add_f16_e32 v52, v52, v60
	v_mul_f16_e32 v60, 0x3964, v25
	v_add_f16_e32 v39, v39, v44
	v_mul_f16_e32 v44, 0xb5c8, v23
	;; [unrolled: 2-line block ×4, first 2 shown]
	v_add_f16_e32 v25, v13, v29
	v_add_f16_sdwa v12, v13, v12 dst_sel:DWORD dst_unused:UNUSED_PAD src0_sel:WORD_1 src1_sel:DWORD
	v_pk_fma_f16 v13, v24, s12, v9 op_sel_hi:[0,1,1]
	v_pk_fma_f16 v9, v24, s12, v9 op_sel_hi:[0,1,1] neg_lo:[0,0,1] neg_hi:[0,0,1]
	v_add_f16_e32 v45, v45, v50
	v_fma_f16 v50, v24, s34, v44
	v_fma_f16 v44, v24, s34, -v44
	v_add_f16_e32 v40, v40, v41
	v_fma_f16 v41, v20, s33, v38
	v_fma_f16 v38, v20, s33, -v38
	;; [unrolled: 3-line block ×3, first 2 shown]
	v_pk_add_f16 v6, v9, v6
	v_pk_mul_f16 v9, v19, s22 op_sel_hi:[0,1]
	v_add_f16_e32 v44, v44, v52
	v_mul_f16_e32 v52, 0xba62, v23
	v_add_f16_e32 v38, v38, v39
	v_mul_f16_e32 v39, 0xb1e1, v19
	;; [unrolled: 2-line block ×3, first 2 shown]
	v_add_f16_e32 v23, v13, v25
	v_add_f16_sdwa v12, v13, v12 dst_sel:DWORD dst_unused:UNUSED_PAD src0_sel:WORD_1 src1_sel:DWORD
	v_pk_fma_f16 v13, v20, s13, v9 op_sel_hi:[0,1,1]
	v_pk_fma_f16 v9, v20, s13, v9 op_sel_hi:[0,1,1] neg_lo:[0,0,1] neg_hi:[0,0,1]
	v_add_f16_e32 v63, v63, v65
	v_add_f16_e32 v41, v41, v45
	v_fma_f16 v45, v20, s31, v39
	v_fma_f16 v39, v20, s31, -v39
	v_add_f16_e32 v28, v28, v40
	v_fma_f16 v40, v15, s31, v35
	v_fma_f16 v35, v15, s31, -v35
	v_pk_add_f16 v6, v9, v6
	v_pk_mul_f16 v9, v14, s23 op_sel_hi:[0,1]
	v_add_f16_e32 v61, v61, v63
	v_add_f16_e32 v39, v39, v44
	v_mul_f16_e32 v44, 0x3b29, v19
	v_add_f16_e32 v35, v35, v38
	v_mul_f16_e32 v38, 0x3964, v14
	v_add_f16_e32 v19, v13, v23
	v_add_f16_sdwa v12, v13, v12 dst_sel:DWORD dst_unused:UNUSED_PAD src0_sel:WORD_1 src1_sel:DWORD
	v_pk_fma_f16 v13, v15, s20, v9 op_sel_hi:[0,1,1]
	v_pk_fma_f16 v9, v15, s20, v9 op_sel_hi:[0,1,1] neg_lo:[0,0,1] neg_hi:[0,0,1]
	v_fma_f16 v65, v32, s34, v64
	v_fma_f16 v64, v32, s34, -v64
	v_add_f16_e32 v59, v59, v61
	v_add_f16_e32 v40, v40, v41
	v_fma_f16 v41, v15, s33, v38
	v_fma_f16 v38, v15, s33, -v38
	v_pk_add_f16 v6, v9, v6
	v_pk_mul_f16 v9, v10, s25 op_sel_hi:[0,1]
	v_add_f16_e32 v64, v64, v66
	v_fma_f16 v63, v30, s30, v62
	v_fma_f16 v62, v30, s30, -v62
	v_add_f16_e32 v50, v50, v59
	v_add_f16_e32 v38, v38, v39
	v_mul_f16_e32 v39, 0xbbb2, v14
	v_add_f16_e32 v14, v13, v19
	v_add_f16_sdwa v12, v13, v12 dst_sel:DWORD dst_unused:UNUSED_PAD src0_sel:WORD_1 src1_sel:DWORD
	v_pk_fma_f16 v13, v11, s24, v9 op_sel_hi:[0,1,1]
	v_pk_fma_f16 v9, v11, s24, v9 op_sel_hi:[0,1,1] neg_lo:[0,0,1] neg_hi:[0,0,1]
	v_add_f16_e32 v65, v65, v67
	v_add_f16_e32 v62, v62, v64
	v_fma_f16 v61, v27, s33, v60
	v_fma_f16 v60, v27, s33, -v60
	v_add_f16_e32 v45, v45, v50
	v_pk_add_f16 v9, v9, v6
	v_mul_f16_e32 v6, 0xb836, v10
	v_add_f16_e32 v63, v63, v65
	v_add_f16_e32 v60, v60, v62
	v_fma_f16 v59, v24, s29, v52
	v_fma_f16 v52, v24, s29, -v52
	v_add_f16_e32 v41, v41, v45
	v_fma_f16 v45, v15, s28, v39
	v_fma_f16 v39, v15, s28, -v39
	v_add_f16_e32 v14, v13, v14
	v_add_f16_sdwa v12, v13, v12 dst_sel:DWORD dst_unused:UNUSED_PAD src0_sel:WORD_1 src1_sel:DWORD
	v_fma_f16 v13, v11, s30, v6
	v_fma_f16 v6, v11, s30, -v6
	v_mul_f16_e32 v15, 0x3964, v10
	v_add_f16_e32 v61, v61, v63
	v_add_f16_e32 v52, v52, v60
	v_fma_f16 v50, v20, s27, v44
	v_fma_f16 v44, v20, s27, -v44
	v_add_f16_e32 v6, v6, v16
	v_fma_f16 v16, v11, s33, v15
	v_add_f16_e32 v59, v59, v61
	v_add_f16_e32 v44, v44, v52
	;; [unrolled: 1-line block ×4, first 2 shown]
	v_mul_f16_e32 v17, 0xba62, v10
	v_mul_f16_e32 v20, 0x3b29, v10
	;; [unrolled: 1-line block ×4, first 2 shown]
	v_add_f16_e32 v50, v50, v59
	v_add_f16_e32 v39, v39, v44
	v_fma_f16 v15, v11, s33, -v15
	v_fma_f16 v24, v11, s26, v10
	v_fma_f16 v10, v11, s26, -v10
	v_add_f16_e32 v45, v45, v50
	v_add_f16_e32 v15, v15, v21
	v_fma_f16 v19, v11, s29, v17
	v_fma_f16 v17, v11, s29, -v17
	v_fma_f16 v21, v11, s27, v20
	v_fma_f16 v20, v11, s27, -v20
	;; [unrolled: 2-line block ×3, first 2 shown]
	v_add_f16_e32 v10, v10, v39
	v_add_f16_e32 v19, v19, v28
	;; [unrolled: 1-line block ×8, first 2 shown]
	s_waitcnt lgkmcnt(0)
	; wave barrier
	s_waitcnt lgkmcnt(0)
	ds_write_b16 v58, v5
	ds_write_b16 v58, v14 offset:34
	ds_write_b16 v58, v12 offset:68
	;; [unrolled: 1-line block ×14, first 2 shown]
	v_lshrrev_b32_e32 v10, 16, v9
	ds_write_b16 v58, v10 offset:510
	ds_write_b16 v58, v9 offset:544
	s_waitcnt lgkmcnt(0)
	; wave barrier
	s_waitcnt lgkmcnt(0)
	ds_read_u16 v16, v0 offset:680
	ds_read_u16 v20, v0 offset:782
	ds_read_u16 v12, v0
	ds_read_u16 v14, v0 offset:102
	ds_read_u16 v19, v0 offset:204
	ds_read_u16 v22, v0 offset:306
	ds_read_u16 v23, v0 offset:884
	ds_read_u16 v13, v0 offset:578
	ds_read_u16 v24, v0 offset:408
	ds_read_u16 v17, v0 offset:1258
	ds_read_u16 v21, v0 offset:1360
	ds_read_u16 v25, v0 offset:1462
	ds_read_u16 v26, v0 offset:1564
	ds_read_u16 v15, v0 offset:1156
	ds_read_u16 v27, v0 offset:986
                                        ; implicit-def: $vgpr11
	s_and_saveexec_b64 s[4:5], s[0:1]
	s_cbranch_execz .LBB0_17
; %bb.16:
	ds_read_u16 v10, v0 offset:510
	ds_read_u16 v9, v0 offset:1088
	;; [unrolled: 1-line block ×3, first 2 shown]
.LBB0_17:
	s_or_b64 exec, exec, s[4:5]
	s_and_saveexec_b64 s[4:5], vcc
	s_cbranch_execz .LBB0_20
; %bb.18:
	v_lshlrev_b32_e32 v28, 1, v7
	v_add_u32_e32 v5, 0x198, v28
	v_mov_b32_e32 v6, 0
	v_lshlrev_b64 v[29:30], 2, v[5:6]
	v_add_u32_e32 v5, 0x132, v28
	v_mov_b32_e32 v0, s9
	v_add_co_u32_e32 v29, vcc, s8, v29
	v_lshlrev_b64 v[34:35], 2, v[5:6]
	v_addc_co_u32_e32 v30, vcc, v0, v30, vcc
	v_add_co_u32_e32 v34, vcc, s8, v34
	global_load_dwordx2 v[30:31], v[29:30], off offset:1088
	v_addc_co_u32_e32 v35, vcc, v0, v35, vcc
	v_add_u32_e32 v5, 0xcc, v28
	global_load_dwordx2 v[34:35], v[34:35], off offset:1088
	v_lshlrev_b64 v[38:39], 2, v[5:6]
	v_add_u32_e32 v5, 0x66, v28
	v_add_co_u32_e32 v38, vcc, s8, v38
	v_addc_co_u32_e32 v39, vcc, v0, v39, vcc
	global_load_dwordx2 v[38:39], v[38:39], off offset:1088
	v_lshlrev_b64 v[40:41], 2, v[5:6]
	v_mov_b32_e32 v29, v6
	v_add_co_u32_e32 v40, vcc, s8, v40
	v_addc_co_u32_e32 v41, vcc, v0, v41, vcc
	global_load_dwordx2 v[40:41], v[40:41], off offset:1088
	v_lshlrev_b64 v[28:29], 2, v[28:29]
	v_mul_lo_u32 v32, s3, v3
	v_add_co_u32_e32 v28, vcc, s8, v28
	v_addc_co_u32_e32 v29, vcc, v0, v29, vcc
	global_load_dwordx2 v[28:29], v[28:29], off offset:1088
	v_mul_lo_u32 v5, s2, v4
	v_mad_u64_u32 v[3:4], s[2:3], s2, v3, 0
	s_movk_i32 s2, 0x3aee
	s_mov_b32 s3, 0xbaee
	v_add3_u32 v4, v4, v5, v32
	s_mov_b32 s4, 0xe2c4a689
	v_lshlrev_b64 v[3:4], 2, v[3:4]
	s_movk_i32 s6, 0x363
	v_add_co_u32_e32 v3, vcc, s14, v3
	s_movk_i32 s5, 0x121
	s_waitcnt vmcnt(4) lgkmcnt(0)
	v_mul_f16_sdwa v0, v27, v30 dst_sel:DWORD dst_unused:UNUSED_PAD src0_sel:DWORD src1_sel:WORD_1
	v_mul_f16_sdwa v5, v26, v31 dst_sel:DWORD dst_unused:UNUSED_PAD src0_sel:DWORD src1_sel:WORD_1
	;; [unrolled: 1-line block ×4, first 2 shown]
	v_fma_f16 v0, v57, v30, -v0
	v_fma_f16 v5, v56, v31, -v5
	v_fma_f16 v27, v27, v30, v32
	v_fma_f16 v26, v26, v31, v44
	s_waitcnt vmcnt(3)
	v_mul_f16_sdwa v30, v23, v34 dst_sel:DWORD dst_unused:UNUSED_PAD src0_sel:DWORD src1_sel:WORD_1
	v_mul_f16_sdwa v31, v25, v35 dst_sel:DWORD dst_unused:UNUSED_PAD src0_sel:DWORD src1_sel:WORD_1
	;; [unrolled: 1-line block ×4, first 2 shown]
	v_sub_f16_e32 v45, v0, v5
	v_add_f16_e32 v50, v27, v26
	v_add_f16_e32 v56, v0, v5
	;; [unrolled: 1-line block ×3, first 2 shown]
	v_fma_f16 v30, v54, v34, -v30
	v_fma_f16 v31, v55, v35, -v31
	v_fma_f16 v23, v23, v34, v32
	v_fma_f16 v25, v25, v35, v44
	v_add_f16_e32 v52, v24, v27
	v_fma_f16 v24, v50, -0.5, v24
	v_add_f16_e32 v35, v0, v5
	v_add_f16_e32 v5, v23, v25
	;; [unrolled: 1-line block ×4, first 2 shown]
	v_sub_f16_e32 v23, v23, v25
	v_fma_f16 v5, v5, -0.5, v22
	v_add_f16_e32 v22, v44, v25
	v_fma_f16 v25, v50, -0.5, v51
	v_fma_f16 v44, v23, s3, v25
	v_fma_f16 v23, v23, s2, v25
	s_waitcnt vmcnt(2)
	v_mul_f16_sdwa v25, v48, v38 dst_sel:DWORD dst_unused:UNUSED_PAD src0_sel:DWORD src1_sel:WORD_1
	v_sub_f16_e32 v27, v27, v26
	v_mul_f16_sdwa v32, v20, v38 dst_sel:DWORD dst_unused:UNUSED_PAD src0_sel:DWORD src1_sel:WORD_1
	v_fma_f16 v34, v56, -0.5, v53
	v_sub_f16_e32 v0, v30, v31
	v_add_f16_e32 v30, v51, v30
	v_fma_f16 v20, v20, v38, v25
	v_mul_f16_sdwa v25, v49, v39 dst_sel:DWORD dst_unused:UNUSED_PAD src0_sel:DWORD src1_sel:WORD_1
	v_add_f16_e32 v26, v52, v26
	v_fma_f16 v52, v45, s2, v24
	v_fma_f16 v24, v45, s3, v24
	;; [unrolled: 1-line block ×4, first 2 shown]
	v_add_f16_e32 v30, v30, v31
	v_fma_f16 v31, v0, s2, v5
	v_fma_f16 v34, v0, s3, v5
	v_mul_f16_sdwa v0, v21, v39 dst_sel:DWORD dst_unused:UNUSED_PAD src0_sel:DWORD src1_sel:WORD_1
	v_fma_f16 v21, v21, v39, v25
	v_fma_f16 v32, v48, v38, -v32
	v_fma_f16 v0, v49, v39, -v0
	v_add_f16_e32 v25, v20, v21
	v_sub_f16_e32 v5, v32, v0
	v_fma_f16 v25, v25, -0.5, v19
	v_fma_f16 v38, v5, s2, v25
	v_fma_f16 v25, v5, s3, v25
	v_add_f16_e32 v5, v19, v20
	v_add_f16_e32 v39, v32, v0
	;; [unrolled: 1-line block ×4, first 2 shown]
	s_waitcnt vmcnt(1)
	v_mul_f16_sdwa v32, v43, v40 dst_sel:DWORD dst_unused:UNUSED_PAD src0_sel:DWORD src1_sel:WORD_1
	v_sub_f16_e32 v48, v20, v21
	v_add_f16_e32 v20, v5, v0
	v_mul_f16_sdwa v0, v16, v40 dst_sel:DWORD dst_unused:UNUSED_PAD src0_sel:DWORD src1_sel:WORD_1
	v_mul_f16_sdwa v5, v17, v41 dst_sel:DWORD dst_unused:UNUSED_PAD src0_sel:DWORD src1_sel:WORD_1
	v_fma_f16 v16, v16, v40, v32
	v_mul_f16_sdwa v32, v46, v41 dst_sel:DWORD dst_unused:UNUSED_PAD src0_sel:DWORD src1_sel:WORD_1
	v_fma_f16 v0, v43, v40, -v0
	v_fma_f16 v5, v46, v41, -v5
	v_fma_f16 v17, v17, v41, v32
	v_sub_f16_e32 v21, v0, v5
	v_add_f16_e32 v32, v16, v17
	v_add_f16_e32 v41, v0, v5
	;; [unrolled: 1-line block ×3, first 2 shown]
	v_fma_f16 v32, v32, -0.5, v14
	v_sub_f16_e32 v43, v16, v17
	v_add_f16_e32 v14, v14, v16
	v_add_f16_e32 v16, v0, v5
	s_waitcnt vmcnt(0)
	v_mul_f16_sdwa v0, v13, v28 dst_sel:DWORD dst_unused:UNUSED_PAD src0_sel:DWORD src1_sel:WORD_1
	v_fma_f16 v0, v36, v28, -v0
	v_mul_f16_sdwa v36, v36, v28 dst_sel:DWORD dst_unused:UNUSED_PAD src0_sel:DWORD src1_sel:WORD_1
	v_fma_f16 v13, v13, v28, v36
	v_mul_f16_sdwa v28, v42, v29 dst_sel:DWORD dst_unused:UNUSED_PAD src0_sel:DWORD src1_sel:WORD_1
	v_mul_f16_sdwa v5, v15, v29 dst_sel:DWORD dst_unused:UNUSED_PAD src0_sel:DWORD src1_sel:WORD_1
	v_fma_f16 v15, v15, v29, v28
	v_add_f16_e32 v28, v13, v15
	v_fma_f16 v41, v41, -0.5, v37
	v_fma_f16 v28, v28, -0.5, v12
	v_sub_f16_e32 v37, v13, v15
	v_add_f16_e32 v12, v12, v13
	v_mul_hi_u32 v13, v7, s4
	v_fma_f16 v5, v42, v29, -v5
	v_add_f16_e32 v14, v14, v17
	v_sub_f16_e32 v17, v0, v5
	v_add_f16_e32 v36, v0, v5
	v_add_f16_e32 v0, v33, v0
	;; [unrolled: 1-line block ×3, first 2 shown]
	v_lshrrev_b32_e32 v0, 8, v13
	v_mul_u32_u24_e32 v0, 0x121, v0
	v_sub_u32_e32 v13, v7, v0
	v_mov_b32_e32 v0, s15
	v_addc_co_u32_e32 v4, vcc, v0, v4, vcc
	v_lshlrev_b64 v[0:1], 2, v[1:2]
	v_add_f16_e32 v12, v12, v15
	v_add_co_u32_e32 v2, vcc, v3, v0
	v_addc_co_u32_e32 v3, vcc, v4, v1, vcc
	v_lshlrev_b32_e32 v0, 2, v13
	v_pack_b32_f16 v4, v5, v12
	v_add_u32_e32 v5, 51, v7
	v_fma_f16 v36, v36, -0.5, v33
	v_add_co_u32_e32 v0, vcc, v2, v0
	v_mul_hi_u32 v12, v5, s4
	v_fma_f16 v29, v17, s2, v28
	v_fma_f16 v17, v17, s3, v28
	;; [unrolled: 1-line block ×3, first 2 shown]
	v_addc_co_u32_e32 v1, vcc, 0, v3, vcc
	v_fma_f16 v40, v21, s2, v32
	v_fma_f16 v46, v43, s3, v41
	;; [unrolled: 1-line block ×5, first 2 shown]
	global_store_dword v[0:1], v4, off
	v_pack_b32_f16 v4, v28, v17
	global_store_dword v[0:1], v4, off offset:1156
	v_pack_b32_f16 v4, v41, v29
	global_store_dword v[0:1], v4, off offset:2312
	v_lshrrev_b32_e32 v0, 8, v12
	v_mul_u32_u24_e32 v1, 0x121, v0
	v_sub_u32_e32 v1, v5, v1
	v_mad_u32_u24 v5, v0, s6, v1
	v_lshlrev_b64 v[0:1], 2, v[5:6]
	v_pack_b32_f16 v4, v16, v14
	v_add_co_u32_e32 v0, vcc, v2, v0
	v_addc_co_u32_e32 v1, vcc, v3, v1, vcc
	global_store_dword v[0:1], v4, off
	v_add_u32_e32 v0, 0x121, v5
	v_mov_b32_e32 v1, v6
	v_lshlrev_b64 v[0:1], 2, v[0:1]
	v_pack_b32_f16 v4, v32, v21
	v_add_co_u32_e32 v0, vcc, v2, v0
	v_addc_co_u32_e32 v1, vcc, v3, v1, vcc
	global_store_dword v[0:1], v4, off
	v_add_u32_e32 v5, 0x242, v5
	v_add_u32_e32 v4, 0x66, v7
	v_lshlrev_b64 v[0:1], 2, v[5:6]
	v_mul_hi_u32 v5, v4, s4
	v_add_co_u32_e32 v0, vcc, v2, v0
	v_addc_co_u32_e32 v1, vcc, v3, v1, vcc
	v_pack_b32_f16 v12, v46, v40
	global_store_dword v[0:1], v12, off
	v_lshrrev_b32_e32 v0, 8, v5
	v_mul_u32_u24_e32 v1, 0x121, v0
	v_sub_u32_e32 v1, v4, v1
	v_mad_u32_u24 v5, v0, s6, v1
	v_lshlrev_b64 v[0:1], 2, v[5:6]
	v_pack_b32_f16 v4, v20, v19
	v_add_co_u32_e32 v0, vcc, v2, v0
	v_addc_co_u32_e32 v1, vcc, v3, v1, vcc
	global_store_dword v[0:1], v4, off
	v_add_u32_e32 v0, 0x121, v5
	v_mov_b32_e32 v1, v6
	v_lshlrev_b64 v[0:1], 2, v[0:1]
	v_fma_f16 v39, v39, -0.5, v47
	v_fma_f16 v49, v48, s3, v39
	v_fma_f16 v39, v48, s2, v39
	v_add_co_u32_e32 v0, vcc, v2, v0
	v_addc_co_u32_e32 v1, vcc, v3, v1, vcc
	v_pack_b32_f16 v4, v39, v25
	global_store_dword v[0:1], v4, off
	v_add_u32_e32 v5, 0x242, v5
	v_add_u32_e32 v4, 0x99, v7
	v_lshlrev_b64 v[0:1], 2, v[5:6]
	v_mul_hi_u32 v5, v4, s4
	v_add_co_u32_e32 v0, vcc, v2, v0
	v_addc_co_u32_e32 v1, vcc, v3, v1, vcc
	v_pack_b32_f16 v12, v49, v38
	global_store_dword v[0:1], v12, off
	v_lshrrev_b32_e32 v0, 8, v5
	v_mul_u32_u24_e32 v1, 0x121, v0
	v_sub_u32_e32 v1, v4, v1
	v_mad_u32_u24 v5, v0, s6, v1
	v_lshlrev_b64 v[0:1], 2, v[5:6]
	v_pack_b32_f16 v4, v30, v22
	v_add_co_u32_e32 v0, vcc, v2, v0
	v_addc_co_u32_e32 v1, vcc, v3, v1, vcc
	global_store_dword v[0:1], v4, off
	v_add_u32_e32 v0, 0x121, v5
	v_mov_b32_e32 v1, v6
	v_lshlrev_b64 v[0:1], 2, v[0:1]
	v_pack_b32_f16 v4, v23, v34
	v_add_co_u32_e32 v0, vcc, v2, v0
	v_addc_co_u32_e32 v1, vcc, v3, v1, vcc
	global_store_dword v[0:1], v4, off
	v_add_u32_e32 v5, 0x242, v5
	v_add_u32_e32 v4, 0xcc, v7
	v_lshlrev_b64 v[0:1], 2, v[5:6]
	v_mul_hi_u32 v5, v4, s4
	v_add_co_u32_e32 v0, vcc, v2, v0
	v_addc_co_u32_e32 v1, vcc, v3, v1, vcc
	v_pack_b32_f16 v12, v44, v31
	global_store_dword v[0:1], v12, off
	v_lshrrev_b32_e32 v0, 8, v5
	v_mul_u32_u24_e32 v1, 0x121, v0
	v_sub_u32_e32 v1, v4, v1
	v_mad_u32_u24 v5, v0, s6, v1
	v_lshlrev_b64 v[0:1], 2, v[5:6]
	v_pack_b32_f16 v4, v35, v26
	v_add_co_u32_e32 v0, vcc, v2, v0
	v_addc_co_u32_e32 v1, vcc, v3, v1, vcc
	global_store_dword v[0:1], v4, off
	v_add_u32_e32 v0, 0x121, v5
	v_mov_b32_e32 v1, v6
	v_lshlrev_b64 v[0:1], 2, v[0:1]
	v_pack_b32_f16 v4, v27, v24
	v_add_co_u32_e32 v0, vcc, v2, v0
	v_addc_co_u32_e32 v1, vcc, v3, v1, vcc
	v_add_u32_e32 v5, 0x242, v5
	global_store_dword v[0:1], v4, off
	v_lshlrev_b64 v[0:1], 2, v[5:6]
	v_pack_b32_f16 v4, v45, v52
	v_add_co_u32_e32 v0, vcc, v2, v0
	v_addc_co_u32_e32 v1, vcc, v3, v1, vcc
	global_store_dword v[0:1], v4, off
	v_add_u32_e32 v0, 0xff, v7
	v_cmp_gt_u32_e32 vcc, s5, v0
	s_and_b64 exec, exec, vcc
	s_cbranch_execz .LBB0_20
; %bb.19:
	v_not_b32_e32 v1, 33
	v_mov_b32_e32 v4, 0xff
	v_cndmask_b32_e64 v1, v1, v4, s[0:1]
	v_add_lshl_u32 v5, v7, v1, 1
	v_lshlrev_b64 v[4:5], 2, v[5:6]
	v_mov_b32_e32 v1, s9
	v_add_co_u32_e32 v4, vcc, s8, v4
	v_addc_co_u32_e32 v5, vcc, v1, v5, vcc
	global_load_dwordx2 v[12:13], v[4:5], off offset:1088
	v_mov_b32_e32 v1, v6
	v_lshlrev_b64 v[0:1], 2, v[0:1]
	v_add_u32_e32 v5, 0x220, v7
	v_add_co_u32_e32 v0, vcc, v2, v0
	v_lshlrev_b64 v[14:15], 2, v[5:6]
	v_addc_co_u32_e32 v1, vcc, v3, v1, vcc
	v_add_u32_e32 v5, 0x341, v7
	v_lshlrev_b64 v[4:5], 2, v[5:6]
	v_add_co_u32_e32 v6, vcc, v2, v14
	v_addc_co_u32_e32 v7, vcc, v3, v15, vcc
	v_add_co_u32_e32 v2, vcc, v2, v4
	v_addc_co_u32_e32 v3, vcc, v3, v5, vcc
	v_lshrrev_b32_e32 v16, 16, v8
	s_waitcnt vmcnt(0)
	v_mul_f16_sdwa v4, v9, v12 dst_sel:DWORD dst_unused:UNUSED_PAD src0_sel:DWORD src1_sel:WORD_1
	v_mul_f16_sdwa v5, v8, v12 dst_sel:DWORD dst_unused:UNUSED_PAD src0_sel:DWORD src1_sel:WORD_1
	;; [unrolled: 1-line block ×4, first 2 shown]
	v_fma_f16 v4, v8, v12, -v4
	v_fma_f16 v5, v9, v12, v5
	v_fma_f16 v8, v18, v13, -v14
	v_fma_f16 v9, v11, v13, v15
	v_add_f16_e32 v11, v16, v4
	v_add_f16_e32 v12, v4, v8
	v_sub_f16_e32 v13, v5, v9
	v_add_f16_e32 v14, v10, v5
	v_add_f16_e32 v5, v5, v9
	v_sub_f16_e32 v4, v4, v8
	v_add_f16_e32 v8, v11, v8
	v_fma_f16 v11, v12, -0.5, v16
	v_add_f16_e32 v9, v14, v9
	v_fma_f16 v5, v5, -0.5, v10
	v_fma_f16 v10, v13, s2, v11
	v_fma_f16 v12, v4, s3, v5
	;; [unrolled: 1-line block ×3, first 2 shown]
	v_pack_b32_f16 v5, v8, v9
	v_fma_f16 v11, v13, s3, v11
	global_store_dword v[0:1], v5, off
	v_pack_b32_f16 v0, v10, v12
	v_pack_b32_f16 v1, v11, v4
	global_store_dword v[6:7], v0, off
	global_store_dword v[2:3], v1, off
.LBB0_20:
	s_endpgm
	.section	.rodata,"a",@progbits
	.p2align	6, 0x0
	.amdhsa_kernel fft_rtc_fwd_len867_factors_17_17_3_wgs_51_tpt_51_halfLds_half_op_CI_CI_unitstride_sbrr_dirReg
		.amdhsa_group_segment_fixed_size 0
		.amdhsa_private_segment_fixed_size 0
		.amdhsa_kernarg_size 104
		.amdhsa_user_sgpr_count 6
		.amdhsa_user_sgpr_private_segment_buffer 1
		.amdhsa_user_sgpr_dispatch_ptr 0
		.amdhsa_user_sgpr_queue_ptr 0
		.amdhsa_user_sgpr_kernarg_segment_ptr 1
		.amdhsa_user_sgpr_dispatch_id 0
		.amdhsa_user_sgpr_flat_scratch_init 0
		.amdhsa_user_sgpr_private_segment_size 0
		.amdhsa_uses_dynamic_stack 0
		.amdhsa_system_sgpr_private_segment_wavefront_offset 0
		.amdhsa_system_sgpr_workgroup_id_x 1
		.amdhsa_system_sgpr_workgroup_id_y 0
		.amdhsa_system_sgpr_workgroup_id_z 0
		.amdhsa_system_sgpr_workgroup_info 0
		.amdhsa_system_vgpr_workitem_id 0
		.amdhsa_next_free_vgpr 75
		.amdhsa_next_free_sgpr 71
		.amdhsa_reserve_vcc 1
		.amdhsa_reserve_flat_scratch 0
		.amdhsa_float_round_mode_32 0
		.amdhsa_float_round_mode_16_64 0
		.amdhsa_float_denorm_mode_32 3
		.amdhsa_float_denorm_mode_16_64 3
		.amdhsa_dx10_clamp 1
		.amdhsa_ieee_mode 1
		.amdhsa_fp16_overflow 0
		.amdhsa_exception_fp_ieee_invalid_op 0
		.amdhsa_exception_fp_denorm_src 0
		.amdhsa_exception_fp_ieee_div_zero 0
		.amdhsa_exception_fp_ieee_overflow 0
		.amdhsa_exception_fp_ieee_underflow 0
		.amdhsa_exception_fp_ieee_inexact 0
		.amdhsa_exception_int_div_zero 0
	.end_amdhsa_kernel
	.text
.Lfunc_end0:
	.size	fft_rtc_fwd_len867_factors_17_17_3_wgs_51_tpt_51_halfLds_half_op_CI_CI_unitstride_sbrr_dirReg, .Lfunc_end0-fft_rtc_fwd_len867_factors_17_17_3_wgs_51_tpt_51_halfLds_half_op_CI_CI_unitstride_sbrr_dirReg
                                        ; -- End function
	.section	.AMDGPU.csdata,"",@progbits
; Kernel info:
; codeLenInByte = 12780
; NumSgprs: 75
; NumVgprs: 75
; ScratchSize: 0
; MemoryBound: 0
; FloatMode: 240
; IeeeMode: 1
; LDSByteSize: 0 bytes/workgroup (compile time only)
; SGPRBlocks: 9
; VGPRBlocks: 18
; NumSGPRsForWavesPerEU: 75
; NumVGPRsForWavesPerEU: 75
; Occupancy: 3
; WaveLimiterHint : 1
; COMPUTE_PGM_RSRC2:SCRATCH_EN: 0
; COMPUTE_PGM_RSRC2:USER_SGPR: 6
; COMPUTE_PGM_RSRC2:TRAP_HANDLER: 0
; COMPUTE_PGM_RSRC2:TGID_X_EN: 1
; COMPUTE_PGM_RSRC2:TGID_Y_EN: 0
; COMPUTE_PGM_RSRC2:TGID_Z_EN: 0
; COMPUTE_PGM_RSRC2:TIDIG_COMP_CNT: 0
	.type	__hip_cuid_4dd55ada434b69e3,@object ; @__hip_cuid_4dd55ada434b69e3
	.section	.bss,"aw",@nobits
	.globl	__hip_cuid_4dd55ada434b69e3
__hip_cuid_4dd55ada434b69e3:
	.byte	0                               ; 0x0
	.size	__hip_cuid_4dd55ada434b69e3, 1

	.ident	"AMD clang version 19.0.0git (https://github.com/RadeonOpenCompute/llvm-project roc-6.4.0 25133 c7fe45cf4b819c5991fe208aaa96edf142730f1d)"
	.section	".note.GNU-stack","",@progbits
	.addrsig
	.addrsig_sym __hip_cuid_4dd55ada434b69e3
	.amdgpu_metadata
---
amdhsa.kernels:
  - .args:
      - .actual_access:  read_only
        .address_space:  global
        .offset:         0
        .size:           8
        .value_kind:     global_buffer
      - .offset:         8
        .size:           8
        .value_kind:     by_value
      - .actual_access:  read_only
        .address_space:  global
        .offset:         16
        .size:           8
        .value_kind:     global_buffer
      - .actual_access:  read_only
        .address_space:  global
        .offset:         24
        .size:           8
        .value_kind:     global_buffer
      - .actual_access:  read_only
        .address_space:  global
        .offset:         32
        .size:           8
        .value_kind:     global_buffer
      - .offset:         40
        .size:           8
        .value_kind:     by_value
      - .actual_access:  read_only
        .address_space:  global
        .offset:         48
        .size:           8
        .value_kind:     global_buffer
      - .actual_access:  read_only
        .address_space:  global
        .offset:         56
        .size:           8
        .value_kind:     global_buffer
      - .offset:         64
        .size:           4
        .value_kind:     by_value
      - .actual_access:  read_only
        .address_space:  global
        .offset:         72
        .size:           8
        .value_kind:     global_buffer
      - .actual_access:  read_only
        .address_space:  global
        .offset:         80
        .size:           8
        .value_kind:     global_buffer
      - .actual_access:  read_only
        .address_space:  global
        .offset:         88
        .size:           8
        .value_kind:     global_buffer
      - .actual_access:  write_only
        .address_space:  global
        .offset:         96
        .size:           8
        .value_kind:     global_buffer
    .group_segment_fixed_size: 0
    .kernarg_segment_align: 8
    .kernarg_segment_size: 104
    .language:       OpenCL C
    .language_version:
      - 2
      - 0
    .max_flat_workgroup_size: 51
    .name:           fft_rtc_fwd_len867_factors_17_17_3_wgs_51_tpt_51_halfLds_half_op_CI_CI_unitstride_sbrr_dirReg
    .private_segment_fixed_size: 0
    .sgpr_count:     75
    .sgpr_spill_count: 0
    .symbol:         fft_rtc_fwd_len867_factors_17_17_3_wgs_51_tpt_51_halfLds_half_op_CI_CI_unitstride_sbrr_dirReg.kd
    .uniform_work_group_size: 1
    .uses_dynamic_stack: false
    .vgpr_count:     75
    .vgpr_spill_count: 0
    .wavefront_size: 64
amdhsa.target:   amdgcn-amd-amdhsa--gfx906
amdhsa.version:
  - 1
  - 2
...

	.end_amdgpu_metadata
